;; amdgpu-corpus repo=ROCm/rocFFT kind=compiled arch=gfx906 opt=O3
	.text
	.amdgcn_target "amdgcn-amd-amdhsa--gfx906"
	.amdhsa_code_object_version 6
	.protected	bluestein_single_fwd_len1183_dim1_half_op_CI_CI ; -- Begin function bluestein_single_fwd_len1183_dim1_half_op_CI_CI
	.globl	bluestein_single_fwd_len1183_dim1_half_op_CI_CI
	.p2align	8
	.type	bluestein_single_fwd_len1183_dim1_half_op_CI_CI,@function
bluestein_single_fwd_len1183_dim1_half_op_CI_CI: ; @bluestein_single_fwd_len1183_dim1_half_op_CI_CI
; %bb.0:
	s_load_dwordx4 s[8:11], s[4:5], 0x28
	v_mul_u32_u24_e32 v1, 0x2d1, v0
	v_lshrrev_b32_e32 v2, 16, v1
	v_lshl_add_u32 v26, s6, 1, v2
	v_mov_b32_e32 v27, 0
	s_waitcnt lgkmcnt(0)
	v_cmp_gt_u64_e32 vcc, s[8:9], v[26:27]
	s_and_saveexec_b64 s[0:1], vcc
	s_cbranch_execz .LBB0_15
; %bb.1:
	s_load_dwordx4 s[0:3], s[4:5], 0x18
	v_mul_lo_u16_e32 v1, 0x5b, v2
	v_sub_u16_e32 v47, v0, v1
	v_mov_b32_e32 v11, 0x49f
	s_load_dwordx2 s[6:7], s[4:5], 0x38
	s_waitcnt lgkmcnt(0)
	s_load_dwordx4 s[12:15], s[0:1], 0x0
	s_waitcnt lgkmcnt(0)
	v_mad_u64_u32 v[0:1], s[0:1], s14, v26, 0
	v_mad_u64_u32 v[3:4], s[0:1], s12, v47, 0
	;; [unrolled: 1-line block ×3, first 2 shown]
	s_load_dwordx2 s[14:15], s[4:5], 0x0
	v_and_b32_e32 v2, 1, v2
	v_mad_u64_u32 v[6:7], s[0:1], s13, v47, v[4:5]
	v_mov_b32_e32 v1, v5
	v_lshlrev_b64 v[0:1], 2, v[0:1]
	v_mov_b32_e32 v7, s11
	v_mov_b32_e32 v4, v6
	v_add_co_u32_e32 v5, vcc, s10, v0
	v_addc_co_u32_e32 v6, vcc, v7, v1, vcc
	v_lshlrev_b64 v[0:1], 2, v[3:4]
	s_mul_i32 s0, s13, 0xa9
	s_mul_hi_u32 s1, s12, 0xa9
	v_add_co_u32_e32 v0, vcc, v5, v0
	s_add_i32 s1, s1, s0
	s_mul_i32 s0, s12, 0xa9
	v_addc_co_u32_e32 v1, vcc, v6, v1, vcc
	s_lshl_b64 s[16:17], s[0:1], 2
	global_load_dword v3, v[0:1], off
	v_mov_b32_e32 v5, s17
	v_add_co_u32_e32 v0, vcc, s16, v0
	v_lshlrev_b32_e32 v4, 2, v47
	v_addc_co_u32_e32 v1, vcc, v1, v5, vcc
	s_waitcnt lgkmcnt(0)
	global_load_dword v48, v4, s[14:15]
	global_load_dword v6, v[0:1], off
	global_load_dword v46, v4, s[14:15] offset:676
	v_add_co_u32_e32 v0, vcc, s16, v0
	v_addc_co_u32_e32 v1, vcc, v1, v5, vcc
	global_load_dword v7, v[0:1], off
	global_load_dword v45, v4, s[14:15] offset:1352
	v_add_co_u32_e32 v0, vcc, s16, v0
	v_addc_co_u32_e32 v1, vcc, v1, v5, vcc
	;; [unrolled: 4-line block ×5, first 2 shown]
	global_load_dword v5, v[0:1], off
	global_load_dword v41, v4, s[14:15] offset:4056
	v_cmp_eq_u32_e32 vcc, 1, v2
	v_cndmask_b32_e32 v2, 0, v11, vcc
	v_lshlrev_b32_e32 v49, 2, v2
	s_load_dwordx4 s[8:11], s[2:3], 0x0
	v_mov_b32_e32 v2, s15
	v_add_co_u32_e64 v24, s[2:3], s14, v4
	v_add_u32_e32 v40, v49, v4
	v_addc_co_u32_e64 v25, vcc, 0, v2, s[2:3]
	s_movk_i32 s0, 0x4e
	v_cmp_gt_u16_e64 s[0:1], s0, v47
	s_waitcnt vmcnt(13)
	v_lshrrev_b32_e32 v2, 16, v3
	s_waitcnt vmcnt(12)
	v_mul_f16_sdwa v4, v48, v3 dst_sel:DWORD dst_unused:UNUSED_PAD src0_sel:WORD_1 src1_sel:DWORD
	v_mul_f16_sdwa v11, v48, v2 dst_sel:DWORD dst_unused:UNUSED_PAD src0_sel:WORD_1 src1_sel:DWORD
	v_fma_f16 v2, v48, v2, -v4
	s_waitcnt vmcnt(11)
	v_lshrrev_b32_e32 v4, 16, v6
	s_waitcnt vmcnt(10)
	v_mul_f16_sdwa v12, v46, v6 dst_sel:DWORD dst_unused:UNUSED_PAD src0_sel:WORD_1 src1_sel:DWORD
	v_fma_f16 v3, v48, v3, v11
	v_mul_f16_sdwa v11, v46, v4 dst_sel:DWORD dst_unused:UNUSED_PAD src0_sel:WORD_1 src1_sel:DWORD
	v_fma_f16 v4, v46, v4, -v12
	s_waitcnt vmcnt(9)
	v_lshrrev_b32_e32 v12, 16, v7
	s_waitcnt vmcnt(8)
	v_mul_f16_sdwa v13, v45, v7 dst_sel:DWORD dst_unused:UNUSED_PAD src0_sel:WORD_1 src1_sel:DWORD
	v_pack_b32_f16 v2, v3, v2
	v_fma_f16 v3, v46, v6, v11
	v_mul_f16_sdwa v6, v45, v12 dst_sel:DWORD dst_unused:UNUSED_PAD src0_sel:WORD_1 src1_sel:DWORD
	v_fma_f16 v11, v45, v12, -v13
	s_waitcnt vmcnt(7)
	v_lshrrev_b32_e32 v12, 16, v8
	s_waitcnt vmcnt(6)
	v_mul_f16_sdwa v13, v44, v8 dst_sel:DWORD dst_unused:UNUSED_PAD src0_sel:WORD_1 src1_sel:DWORD
	v_pack_b32_f16 v3, v3, v4
	v_fma_f16 v4, v45, v7, v6
	v_mul_f16_sdwa v6, v44, v12 dst_sel:DWORD dst_unused:UNUSED_PAD src0_sel:WORD_1 src1_sel:DWORD
	v_fma_f16 v7, v44, v12, -v13
	ds_write2_b32 v40, v2, v3 offset1:169
	v_fma_f16 v2, v44, v8, v6
	v_pack_b32_f16 v3, v4, v11
	v_pack_b32_f16 v4, v2, v7
	v_add_u32_e32 v2, 0x400, v40
	ds_write2_b32 v2, v3, v4 offset0:82 offset1:251
	s_waitcnt vmcnt(5)
	v_lshrrev_b32_e32 v3, 16, v9
	s_waitcnt vmcnt(4)
	v_mul_f16_sdwa v4, v43, v3 dst_sel:DWORD dst_unused:UNUSED_PAD src0_sel:WORD_1 src1_sel:DWORD
	v_mul_f16_sdwa v6, v43, v9 dst_sel:DWORD dst_unused:UNUSED_PAD src0_sel:WORD_1 src1_sel:DWORD
	v_fma_f16 v4, v43, v9, v4
	v_fma_f16 v3, v43, v3, -v6
	v_pack_b32_f16 v4, v4, v3
	s_waitcnt vmcnt(3)
	v_lshrrev_b32_e32 v3, 16, v10
	s_waitcnt vmcnt(2)
	v_mul_f16_sdwa v6, v42, v3 dst_sel:DWORD dst_unused:UNUSED_PAD src0_sel:WORD_1 src1_sel:DWORD
	v_mul_f16_sdwa v7, v42, v10 dst_sel:DWORD dst_unused:UNUSED_PAD src0_sel:WORD_1 src1_sel:DWORD
	v_fma_f16 v6, v42, v10, v6
	v_fma_f16 v3, v42, v3, -v7
	v_pack_b32_f16 v6, v6, v3
	v_add_u32_e32 v3, 0xa00, v40
	ds_write2_b32 v3, v4, v6 offset0:36 offset1:205
	s_waitcnt vmcnt(1)
	v_lshrrev_b32_e32 v4, 16, v5
	s_waitcnt vmcnt(0)
	v_mul_f16_sdwa v6, v41, v4 dst_sel:DWORD dst_unused:UNUSED_PAD src0_sel:WORD_1 src1_sel:DWORD
	v_fma_f16 v6, v41, v5, v6
	v_mul_f16_sdwa v5, v41, v5 dst_sel:DWORD dst_unused:UNUSED_PAD src0_sel:WORD_1 src1_sel:DWORD
	v_fma_f16 v4, v41, v4, -v5
	v_pack_b32_f16 v4, v6, v4
	ds_write_b32 v40, v4 offset:4056
	s_and_saveexec_b64 s[18:19], s[0:1]
	s_cbranch_execz .LBB0_3
; %bb.2:
	v_mov_b32_e32 v4, 0xfffff194
	v_mad_u64_u32 v[0:1], s[20:21], s12, v4, v[0:1]
	s_mulk_i32 s13, 0xf194
	s_sub_i32 s12, s13, s12
	v_add_u32_e32 v1, s12, v1
	global_load_dword v4, v[0:1], off
	v_mov_b32_e32 v5, s17
	v_add_co_u32_e32 v0, vcc, s16, v0
	v_addc_co_u32_e32 v1, vcc, v1, v5, vcc
	global_load_dword v6, v[0:1], off
	global_load_dword v7, v[24:25], off offset:364
	global_load_dword v8, v[24:25], off offset:1040
	v_add_co_u32_e32 v0, vcc, s16, v0
	v_addc_co_u32_e32 v1, vcc, v1, v5, vcc
	global_load_dword v9, v[0:1], off
	v_add_co_u32_e32 v0, vcc, s16, v0
	v_addc_co_u32_e32 v1, vcc, v1, v5, vcc
	global_load_dword v10, v[24:25], off offset:1716
	global_load_dword v11, v[0:1], off
	global_load_dword v12, v[24:25], off offset:2392
	v_add_co_u32_e32 v0, vcc, s16, v0
	v_addc_co_u32_e32 v1, vcc, v1, v5, vcc
	global_load_dword v13, v[0:1], off
	v_add_co_u32_e32 v0, vcc, s16, v0
	v_addc_co_u32_e32 v1, vcc, v1, v5, vcc
	global_load_dword v14, v[24:25], off offset:3068
	global_load_dword v15, v[0:1], off
	global_load_dword v16, v[24:25], off offset:3744
	v_add_co_u32_e32 v0, vcc, s16, v0
	v_addc_co_u32_e32 v1, vcc, v1, v5, vcc
	global_load_dword v5, v[0:1], off
	v_add_co_u32_e32 v0, vcc, 0x1000, v24
	v_addc_co_u32_e32 v1, vcc, 0, v25, vcc
	global_load_dword v0, v[0:1], off offset:324
	v_add_u32_e32 v1, 0x100, v40
	v_add_u32_e32 v17, 0x600, v40
	;; [unrolled: 1-line block ×3, first 2 shown]
	s_waitcnt vmcnt(13)
	v_lshrrev_b32_e32 v19, 16, v4
	s_waitcnt vmcnt(11)
	v_mul_f16_sdwa v20, v7, v4 dst_sel:DWORD dst_unused:UNUSED_PAD src0_sel:WORD_1 src1_sel:DWORD
	v_mul_f16_sdwa v21, v7, v19 dst_sel:DWORD dst_unused:UNUSED_PAD src0_sel:WORD_1 src1_sel:DWORD
	v_fma_f16 v19, v7, v19, -v20
	v_lshrrev_b32_e32 v20, 16, v6
	s_waitcnt vmcnt(10)
	v_mul_f16_sdwa v22, v8, v6 dst_sel:DWORD dst_unused:UNUSED_PAD src0_sel:WORD_1 src1_sel:DWORD
	v_fma_f16 v4, v7, v4, v21
	v_mul_f16_sdwa v7, v8, v20 dst_sel:DWORD dst_unused:UNUSED_PAD src0_sel:WORD_1 src1_sel:DWORD
	v_fma_f16 v20, v8, v20, -v22
	s_waitcnt vmcnt(9)
	v_lshrrev_b32_e32 v21, 16, v9
	s_waitcnt vmcnt(8)
	v_mul_f16_sdwa v22, v10, v9 dst_sel:DWORD dst_unused:UNUSED_PAD src0_sel:WORD_1 src1_sel:DWORD
	v_pack_b32_f16 v4, v4, v19
	v_fma_f16 v6, v8, v6, v7
	v_mul_f16_sdwa v7, v10, v21 dst_sel:DWORD dst_unused:UNUSED_PAD src0_sel:WORD_1 src1_sel:DWORD
	v_fma_f16 v8, v10, v21, -v22
	s_waitcnt vmcnt(7)
	v_lshrrev_b32_e32 v19, 16, v11
	s_waitcnt vmcnt(6)
	v_mul_f16_sdwa v21, v12, v11 dst_sel:DWORD dst_unused:UNUSED_PAD src0_sel:WORD_1 src1_sel:DWORD
	v_pack_b32_f16 v6, v6, v20
	v_fma_f16 v7, v10, v9, v7
	v_mul_f16_sdwa v9, v12, v19 dst_sel:DWORD dst_unused:UNUSED_PAD src0_sel:WORD_1 src1_sel:DWORD
	v_fma_f16 v10, v12, v19, -v21
	s_waitcnt vmcnt(5)
	v_lshrrev_b32_e32 v19, 16, v13
	s_waitcnt vmcnt(4)
	v_mul_f16_sdwa v20, v14, v13 dst_sel:DWORD dst_unused:UNUSED_PAD src0_sel:WORD_1 src1_sel:DWORD
	ds_write2_b32 v1, v4, v6 offset0:27 offset1:196
	v_pack_b32_f16 v1, v7, v8
	v_fma_f16 v4, v12, v11, v9
	v_mul_f16_sdwa v6, v14, v19 dst_sel:DWORD dst_unused:UNUSED_PAD src0_sel:WORD_1 src1_sel:DWORD
	s_waitcnt vmcnt(3)
	v_lshrrev_b32_e32 v8, 16, v15
	s_waitcnt vmcnt(2)
	v_mul_f16_sdwa v9, v16, v15 dst_sel:DWORD dst_unused:UNUSED_PAD src0_sel:WORD_1 src1_sel:DWORD
	v_fma_f16 v7, v14, v19, -v20
	v_pack_b32_f16 v4, v4, v10
	v_fma_f16 v6, v14, v13, v6
	v_mul_f16_sdwa v10, v16, v8 dst_sel:DWORD dst_unused:UNUSED_PAD src0_sel:WORD_1 src1_sel:DWORD
	v_fma_f16 v8, v16, v8, -v9
	s_waitcnt vmcnt(1)
	v_lshrrev_b32_e32 v9, 16, v5
	s_waitcnt vmcnt(0)
	v_mul_f16_sdwa v11, v0, v5 dst_sel:DWORD dst_unused:UNUSED_PAD src0_sel:WORD_1 src1_sel:DWORD
	ds_write2_b32 v17, v1, v4 offset0:45 offset1:214
	v_pack_b32_f16 v1, v6, v7
	v_mul_f16_sdwa v6, v0, v9 dst_sel:DWORD dst_unused:UNUSED_PAD src0_sel:WORD_1 src1_sel:DWORD
	v_fma_f16 v4, v16, v15, v10
	v_fma_f16 v5, v0, v5, v6
	v_fma_f16 v0, v0, v9, -v11
	v_pack_b32_f16 v4, v4, v8
	v_pack_b32_f16 v0, v5, v0
	ds_write2_b32 v18, v1, v4 offset0:63 offset1:232
	ds_write_b32 v40, v0 offset:4420
.LBB0_3:
	s_or_b64 exec, exec, s[18:19]
	s_waitcnt lgkmcnt(0)
	s_barrier
	ds_read2_b32 v[0:1], v40 offset1:169
	ds_read2_b32 v[6:7], v2 offset0:82 offset1:251
	ds_read2_b32 v[8:9], v3 offset0:36 offset1:205
	ds_read_b32 v12, v40 offset:4056
	s_load_dwordx2 s[4:5], s[4:5], 0x8
	v_mov_b32_e32 v3, 0
	v_mov_b32_e32 v4, 0
	;; [unrolled: 1-line block ×4, first 2 shown]
                                        ; implicit-def: $vgpr13
                                        ; implicit-def: $vgpr14
                                        ; implicit-def: $vgpr15
	s_and_saveexec_b64 s[12:13], s[0:1]
	s_cbranch_execz .LBB0_5
; %bb.4:
	v_add_u32_e32 v2, 0x600, v40
	ds_read2_b32 v[4:5], v2 offset0:45 offset1:214
	ds_read_b32 v14, v40 offset:4420
	v_add_u32_e32 v2, 0xb00, v40
	ds_read2_b32 v[10:11], v2 offset0:63 offset1:232
	v_add_u32_e32 v2, 0x100, v40
	ds_read2_b32 v[2:3], v2 offset0:27 offset1:196
	s_mov_b32 s14, 0xffff
	s_waitcnt lgkmcnt(0)
	v_lshrrev_b32_e32 v13, 16, v14
	v_bfi_b32 v14, s14, v14, v5
	v_bfi_b32 v15, s14, v5, v11
.LBB0_5:
	s_or_b64 exec, exec, s[12:13]
	s_mov_b32 s14, 0xffff
	s_waitcnt lgkmcnt(0)
	v_pk_add_f16 v19, v6, v9
	v_pk_add_f16 v20, v6, v9 neg_lo:[0,1] neg_hi:[0,1]
	v_bfi_b32 v6, s14, v3, v10
	s_mov_b32 s16, 0x5040100
	v_pk_add_f16 v17, v1, v12
	v_pk_add_f16 v18, v1, v12 neg_lo:[0,1] neg_hi:[0,1]
	v_pk_add_f16 v21, v7, v8
	v_pk_add_f16 v22, v8, v7 neg_lo:[0,1] neg_hi:[0,1]
	v_add_f16_sdwa v8, v13, v3 dst_sel:DWORD dst_unused:UNUSED_PAD src0_sel:DWORD src1_sel:WORD_1
	v_pk_add_f16 v1, v6, v14 neg_lo:[0,1] neg_hi:[0,1]
	v_bfi_b32 v7, s14, v10, v4
	v_pk_add_f16 v23, v14, v6
	v_alignbit_b32 v3, v10, v3, 16
	v_perm_b32 v6, v15, v13, s16
	v_add_f16_e32 v9, v11, v4
	v_pk_add_f16 v12, v15, v7
	v_pk_add_f16 v3, v3, v6 neg_lo:[0,1] neg_hi:[0,1]
	v_alignbit_b32 v4, v4, v10, 16
	v_alignbit_b32 v6, v11, v14, 16
	v_pk_add_f16 v5, v7, v15 neg_lo:[0,1] neg_hi:[0,1]
	v_pk_add_f16 v4, v4, v6 neg_lo:[0,1] neg_hi:[0,1]
	v_pack_b32_f16 v6, v23, v8
	v_bfi_b32 v7, s14, v9, v12
	v_pack_b32_f16 v8, v12, v8
	v_bfi_b32 v9, s14, v9, v23
	s_mov_b32 s17, 0x7060302
	v_pk_add_f16 v13, v6, v7
	v_pk_add_f16 v8, v8, v9 neg_lo:[0,1] neg_hi:[0,1]
	v_pk_add_f16 v10, v23, v12 neg_lo:[0,1] neg_hi:[0,1]
	v_perm_b32 v9, v3, v5, s17
	v_bfi_b32 v12, s14, v12, v23
	v_pk_add_f16 v14, v9, v4
	v_pack_b32_f16 v11, v4, v1
	v_pk_add_f16 v15, v13, v12
	v_pack_b32_f16 v12, v3, v1
	s_mov_b32 s12, 0x3a522b26
	v_pk_add_f16 v9, v11, v9 neg_lo:[0,1] neg_hi:[0,1]
	v_pk_add_f16 v13, v12, v14
	v_pk_add_f16 v12, v15, v2
	v_pk_mul_f16 v2, v8, s12
	s_mov_b32 s12, 0x3574b846
	v_pk_add_f16 v11, v3, v4 neg_lo:[0,1] neg_hi:[0,1]
	s_mov_b32 s18, 0x2b263a52
	s_mov_b32 s20, 0xb8463574
	v_pk_mul_f16 v9, v9, s12
	s_movk_i32 s12, 0x3cab
	s_movk_i32 s19, 0x370e
	v_pk_fma_f16 v8, v15, s12, v12 op_sel_hi:[1,0,1] neg_lo:[1,0,0] neg_hi:[1,0,0]
	v_pk_fma_f16 v14, v10, s18, v2
	v_pk_fma_f16 v15, v11, s20, v9
	v_pk_add_f16 v23, v14, v8
	v_pk_fma_f16 v15, v13, s19, v15 op_sel_hi:[1,0,1]
	v_pk_add_f16 v14, v23, v15
	v_pk_add_f16 v15, v23, v15 neg_lo:[0,1] neg_hi:[0,1]
	v_mul_lo_u16_e32 v23, 7, v47
	v_lshl_add_u32 v51, v23, 2, v49
	v_pk_add_f16 v23, v19, v17
	v_pk_add_f16 v27, v19, v17 neg_lo:[0,1] neg_hi:[0,1]
	v_pk_add_f16 v17, v17, v21 neg_lo:[0,1] neg_hi:[0,1]
	v_pk_add_f16 v31, v20, v18 op_sel:[1,1] op_sel_hi:[0,0] neg_lo:[0,1] neg_hi:[0,1]
	v_pk_add_f16 v23, v21, v23
	s_movk_i32 s13, 0x3a52
	s_movk_i32 s22, 0x3b00
	v_pk_add_f16 v29, v22, v20 op_sel:[1,1] op_sel_hi:[0,0]
	v_pk_add_f16 v30, v18, v22 op_sel:[1,1] op_sel_hi:[0,0] neg_lo:[0,1] neg_hi:[0,1]
	v_pk_add_f16 v0, v23, v0
	v_pk_mul_f16 v17, v17, s13 op_sel_hi:[1,0]
	s_movk_i32 s21, 0x39e0
	s_movk_i32 s13, 0x3574
	v_pk_mul_f16 v31, v31, s22 op_sel_hi:[1,0]
	s_barrier
	v_pk_add_f16 v18, v29, v18 op_sel:[0,1] op_sel_hi:[1,0]
	v_pk_mul_f16 v29, v27, s21 op_sel_hi:[1,0]
	v_pk_mul_f16 v32, v30, s13 op_sel_hi:[1,0]
	v_pk_fma_f16 v23, v23, s12, v0 op_sel_hi:[1,0,1] neg_lo:[1,0,0] neg_hi:[1,0,0]
	v_pk_fma_f16 v30, v30, s13, v31 op_sel_hi:[1,0,1] neg_lo:[1,0,1] neg_hi:[1,0,1]
	ds_write_b32 v51, v0
	v_pk_add_f16 v0, v21, v19 neg_lo:[0,1] neg_hi:[0,1]
	v_pk_add_f16 v19, v22, v20 op_sel:[1,1] op_sel_hi:[0,0] neg_lo:[0,1] neg_hi:[0,1]
	s_movk_i32 s12, 0x2b26
	s_mov_b32 s13, 0xb846
	v_pk_fma_f16 v27, v27, s21, v17 op_sel_hi:[1,0,1] neg_lo:[1,0,1] neg_hi:[1,0,1]
	v_pk_fma_f16 v20, v0, s12, v29 op_sel_hi:[1,0,1] neg_lo:[1,0,0] neg_hi:[1,0,0]
	;; [unrolled: 1-line block ×3, first 2 shown]
	v_pk_fma_f16 v0, v0, s12, v17 op_sel_hi:[1,0,1]
	v_pk_fma_f16 v17, v19, s13, v32 op_sel_hi:[1,0,1]
	v_pk_add_f16 v27, v27, v23
	v_pk_fma_f16 v30, v18, s19, v30 op_sel_hi:[1,0,1]
	v_pk_add_f16 v20, v20, v23
	;; [unrolled: 2-line block ×3, first 2 shown]
	v_pk_fma_f16 v17, v18, s19, v17 op_sel_hi:[1,0,1]
	v_add_co_u32_e32 v16, vcc, 0x5b, v47
	v_pk_add_f16 v33, v27, v30
	v_pk_add_f16 v27, v27, v30 neg_lo:[0,1] neg_hi:[0,1]
	v_pk_add_f16 v22, v20, v21 neg_lo:[0,1] neg_hi:[0,1]
	v_pk_add_f16 v20, v20, v21
	v_pk_add_f16 v18, v0, v17
	v_pk_add_f16 v0, v0, v17 neg_lo:[0,1] neg_hi:[0,1]
	v_bfi_b32 v28, s14, v15, v14
	v_bfi_b32 v30, s14, v33, v27
	;; [unrolled: 1-line block ×6, first 2 shown]
	v_mul_u32_u24_e32 v50, 7, v16
	ds_write2_b32 v51, v21, v20 offset0:3 offset1:4
	v_bfi_b32 v20, s14, v27, v33
	ds_write2_b32 v51, v0, v30 offset0:1 offset1:2
	ds_write2_b32 v51, v20, v17 offset0:5 offset1:6
	s_and_saveexec_b64 s[12:13], s[0:1]
	s_cbranch_execz .LBB0_7
; %bb.6:
	v_pk_mul_f16 v0, v10, s18
	v_pk_mul_f16 v10, v13, s19 op_sel_hi:[1,0]
	v_pk_mul_f16 v11, v11, s20
	v_lshl_add_u32 v13, v50, 2, v49
	v_bfi_b32 v14, s14, v14, v15
	v_perm_b32 v4, v4, v5, s17
	v_perm_b32 v1, v1, v3, s16
	ds_write2_b32 v13, v12, v14 offset1:1
	v_bfi_b32 v12, s14, v0, v2
	v_pk_add_f16 v6, v7, v6 neg_lo:[0,1] neg_hi:[0,1]
	v_pk_add_f16 v1, v4, v1 neg_lo:[0,1] neg_hi:[0,1]
	v_bfi_b32 v3, s14, v11, v9
	v_pk_fma_f16 v7, v6, s21, v12 op_sel_hi:[1,0,1] neg_lo:[1,0,1] neg_hi:[1,0,1]
	v_pk_fma_f16 v3, v1, s22, v3 op_sel_hi:[1,0,1] neg_lo:[1,0,1] neg_hi:[1,0,1]
	v_pk_add_f16 v7, v7, v8
	v_pk_add_f16 v3, v3, v10
	;; [unrolled: 1-line block ×3, first 2 shown]
	v_pk_add_f16 v3, v7, v3 neg_lo:[0,1] neg_hi:[0,1]
	v_bfi_b32 v7, s14, v9, v11
	v_bfi_b32 v0, s14, v2, v0
	v_pk_fma_f16 v1, v1, s22, v7 op_sel_hi:[1,0,1] neg_lo:[0,0,1] neg_hi:[0,0,1]
	v_pk_fma_f16 v0, v6, s21, v0 op_sel_hi:[1,0,1] neg_lo:[0,0,1] neg_hi:[0,0,1]
	v_pk_add_f16 v1, v1, v10
	v_pk_add_f16 v0, v0, v8
	v_pk_add_f16 v2, v0, v1 neg_lo:[0,1] neg_hi:[0,1]
	v_pk_add_f16 v0, v0, v1
	v_bfi_b32 v5, s14, v4, v3
	v_bfi_b32 v1, s14, v2, v0
	ds_write2_b32 v13, v5, v1 offset0:2 offset1:3
	v_bfi_b32 v0, s14, v0, v2
	v_bfi_b32 v1, s14, v3, v4
	ds_write2_b32 v13, v0, v1 offset0:4 offset1:5
	ds_write_b32 v13, v28 offset:24
.LBB0_7:
	s_or_b64 exec, exec, s[12:13]
	v_mov_b32_e32 v0, 37
	v_mul_lo_u16_sdwa v0, v47, v0 dst_sel:DWORD dst_unused:UNUSED_PAD src0_sel:BYTE_0 src1_sel:DWORD
	v_sub_u16_sdwa v1, v47, v0 dst_sel:DWORD dst_unused:UNUSED_PAD src0_sel:DWORD src1_sel:BYTE_1
	v_lshrrev_b16_e32 v1, 1, v1
	v_and_b32_e32 v1, 0x7f, v1
	v_add_u16_sdwa v0, v1, v0 dst_sel:DWORD dst_unused:UNUSED_PAD src0_sel:DWORD src1_sel:BYTE_1
	v_lshrrev_b16_e32 v12, 2, v0
	v_mul_lo_u16_e32 v0, 7, v12
	v_sub_u16_e32 v13, v47, v0
	v_mov_b32_e32 v0, 12
	v_mul_u32_u24_sdwa v0, v13, v0 dst_sel:DWORD dst_unused:UNUSED_PAD src0_sel:BYTE_0 src1_sel:DWORD
	v_lshlrev_b32_e32 v8, 2, v0
	s_waitcnt lgkmcnt(0)
	s_barrier
	global_load_dwordx4 v[0:3], v8, s[4:5]
	global_load_dwordx4 v[4:7], v8, s[4:5] offset:32
	ds_read2_b32 v[15:16], v40 offset1:91
	ds_read_b32 v14, v40 offset:4368
	global_load_dwordx4 v[8:11], v8, s[4:5] offset:16
	s_movk_i32 s12, 0x3b15
	s_movk_i32 s13, 0x388b
	s_waitcnt lgkmcnt(1)
	v_lshrrev_b32_e32 v17, 16, v16
	s_waitcnt lgkmcnt(0)
	v_lshrrev_b32_e32 v18, 16, v14
	s_movk_i32 s14, 0x2fb7
	s_mov_b32 s16, 0xb5ac
	s_mov_b32 s17, 0xb9fd
	;; [unrolled: 1-line block ×3, first 2 shown]
	v_mul_u32_u24_e32 v12, 0x5b, v12
	v_add_u32_sdwa v12, v12, v13 dst_sel:DWORD dst_unused:UNUSED_PAD src0_sel:DWORD src1_sel:BYTE_0
	s_waitcnt vmcnt(2)
	v_mul_f16_sdwa v19, v17, v0 dst_sel:DWORD dst_unused:UNUSED_PAD src0_sel:DWORD src1_sel:WORD_1
	v_mul_f16_sdwa v20, v16, v0 dst_sel:DWORD dst_unused:UNUSED_PAD src0_sel:DWORD src1_sel:WORD_1
	s_waitcnt vmcnt(1)
	v_mul_f16_sdwa v21, v18, v7 dst_sel:DWORD dst_unused:UNUSED_PAD src0_sel:DWORD src1_sel:WORD_1
	v_mul_f16_sdwa v22, v14, v7 dst_sel:DWORD dst_unused:UNUSED_PAD src0_sel:DWORD src1_sel:WORD_1
	v_fma_f16 v16, v16, v0, -v19
	v_fma_f16 v17, v17, v0, v20
	v_fma_f16 v52, v14, v7, -v21
	v_fma_f16 v58, v18, v7, v22
	v_sub_f16_e32 v18, v16, v52
	v_sub_f16_e32 v19, v17, v58
	v_add_f16_e32 v14, v16, v52
	v_add_f16_e32 v20, v17, v58
	;; [unrolled: 1-line block ×3, first 2 shown]
	v_add_f16_sdwa v60, v17, v15 dst_sel:DWORD dst_unused:UNUSED_PAD src0_sel:DWORD src1_sel:WORD_1
	v_mul_f16_e32 v16, 0xb770, v19
	v_mul_f16_e32 v17, 0xb770, v18
	;; [unrolled: 1-line block ×8, first 2 shown]
	v_fma_f16 v33, v14, s12, -v16
	v_fma_f16 v16, v14, s12, v16
	v_fma_f16 v34, v14, s13, -v21
	v_fma_f16 v21, v14, s13, v21
	;; [unrolled: 2-line block ×6, first 2 shown]
	v_fma_f16 v14, v20, s12, v17
	v_fma_f16 v62, v20, s17, v32
	v_fma_f16 v32, v20, s17, -v32
	v_mul_f16_e32 v22, 0xba95, v18
	v_mul_f16_e32 v27, 0xbbf1, v18
	;; [unrolled: 1-line block ×4, first 2 shown]
	v_add_f16_sdwa v66, v14, v15 dst_sel:DWORD dst_unused:UNUSED_PAD src0_sel:DWORD src1_sel:WORD_1
	v_add_f16_sdwa v14, v32, v15 dst_sel:DWORD dst_unused:UNUSED_PAD src0_sel:DWORD src1_sel:WORD_1
	v_add_u32_e32 v32, 0x200, v40
	v_fma_f16 v17, v20, s12, -v17
	v_fma_f16 v19, v20, s13, v22
	v_fma_f16 v22, v20, s13, -v22
	v_fma_f16 v29, v20, s14, v27
	;; [unrolled: 2-line block ×4, first 2 shown]
	v_fma_f16 v64, v20, s18, -v18
	v_add_f16_e32 v37, v16, v15
	v_add_f16_e32 v20, v54, v15
	;; [unrolled: 1-line block ×3, first 2 shown]
	ds_read2_b32 v[54:55], v32 offset0:54 offset1:145
	v_add_f16_e32 v30, v36, v15
	v_add_u32_e32 v36, 0x400, v40
	v_add_f16_e32 v65, v33, v15
	v_add_f16_sdwa v33, v17, v15 dst_sel:DWORD dst_unused:UNUSED_PAD src0_sel:DWORD src1_sel:WORD_1
	v_add_f16_e32 v67, v34, v15
	v_add_f16_e32 v39, v21, v15
	v_add_f16_sdwa v34, v22, v15 dst_sel:DWORD dst_unused:UNUSED_PAD src0_sel:DWORD src1_sel:WORD_1
	v_add_f16_e32 v69, v35, v15
	v_add_f16_sdwa v35, v27, v15 dst_sel:DWORD dst_unused:UNUSED_PAD src0_sel:DWORD src1_sel:WORD_1
	v_add_f16_sdwa v22, v31, v15 dst_sel:DWORD dst_unused:UNUSED_PAD src0_sel:DWORD src1_sel:WORD_1
	v_add_f16_e32 v21, v56, v15
	v_add_f16_e32 v17, v57, v15
	s_waitcnt lgkmcnt(0)
	v_lshrrev_b32_e32 v27, 16, v54
	v_mul_f16_sdwa v31, v54, v1 dst_sel:DWORD dst_unused:UNUSED_PAD src0_sel:DWORD src1_sel:WORD_1
	ds_read2_b32 v[56:57], v36 offset0:108 offset1:199
	v_add_f16_sdwa v70, v29, v15 dst_sel:DWORD dst_unused:UNUSED_PAD src0_sel:DWORD src1_sel:WORD_1
	v_add_f16_sdwa v29, v61, v15 dst_sel:DWORD dst_unused:UNUSED_PAD src0_sel:DWORD src1_sel:WORD_1
	v_fma_f16 v61, v27, v1, v31
	v_mul_f16_sdwa v27, v27, v1 dst_sel:DWORD dst_unused:UNUSED_PAD src0_sel:DWORD src1_sel:WORD_1
	v_add_f16_sdwa v18, v62, v15 dst_sel:DWORD dst_unused:UNUSED_PAD src0_sel:DWORD src1_sel:WORD_1
	v_fma_f16 v62, v54, v1, -v27
	v_lshrrev_b32_e32 v27, 16, v55
	v_mul_f16_sdwa v31, v27, v2 dst_sel:DWORD dst_unused:UNUSED_PAD src0_sel:DWORD src1_sel:WORD_1
	v_add_f16_sdwa v68, v19, v15 dst_sel:DWORD dst_unused:UNUSED_PAD src0_sel:DWORD src1_sel:WORD_1
	v_add_f16_sdwa v19, v63, v15 dst_sel:DWORD dst_unused:UNUSED_PAD src0_sel:DWORD src1_sel:WORD_1
	v_fma_f16 v63, v55, v2, -v31
	v_mul_f16_sdwa v31, v55, v2 dst_sel:DWORD dst_unused:UNUSED_PAD src0_sel:DWORD src1_sel:WORD_1
	v_add_f16_e32 v53, v23, v15
	v_add_f16_e32 v23, v38, v15
	v_add_f16_sdwa v15, v64, v15 dst_sel:DWORD dst_unused:UNUSED_PAD src0_sel:DWORD src1_sel:WORD_1
	v_fma_f16 v64, v27, v2, v31
	s_waitcnt lgkmcnt(0)
	v_lshrrev_b32_e32 v27, 16, v56
	v_mul_f16_sdwa v31, v56, v3 dst_sel:DWORD dst_unused:UNUSED_PAD src0_sel:DWORD src1_sel:WORD_1
	v_fma_f16 v71, v27, v3, v31
	v_add_u32_e32 v31, 0x800, v40
	ds_read2_b32 v[54:55], v31 offset0:34 offset1:125
	v_mul_f16_sdwa v27, v27, v3 dst_sel:DWORD dst_unused:UNUSED_PAD src0_sel:DWORD src1_sel:WORD_1
	v_fma_f16 v72, v56, v3, -v27
	v_lshrrev_b32_e32 v27, 16, v57
	s_waitcnt vmcnt(0)
	v_mul_f16_sdwa v38, v27, v8 dst_sel:DWORD dst_unused:UNUSED_PAD src0_sel:DWORD src1_sel:WORD_1
	v_fma_f16 v73, v57, v8, -v38
	v_mul_f16_sdwa v38, v57, v8 dst_sel:DWORD dst_unused:UNUSED_PAD src0_sel:DWORD src1_sel:WORD_1
	v_fma_f16 v74, v27, v8, v38
	s_waitcnt lgkmcnt(0)
	v_lshrrev_b32_e32 v27, 16, v54
	v_mul_f16_sdwa v38, v54, v9 dst_sel:DWORD dst_unused:UNUSED_PAD src0_sel:DWORD src1_sel:WORD_1
	v_fma_f16 v75, v27, v9, v38
	v_add_u32_e32 v38, 0xa00, v40
	ds_read2_b32 v[56:57], v38 offset0:88 offset1:179
	v_mul_f16_sdwa v27, v27, v9 dst_sel:DWORD dst_unused:UNUSED_PAD src0_sel:DWORD src1_sel:WORD_1
	v_fma_f16 v76, v54, v9, -v27
	v_lshrrev_b32_e32 v27, 16, v55
	v_mul_f16_sdwa v54, v27, v10 dst_sel:DWORD dst_unused:UNUSED_PAD src0_sel:DWORD src1_sel:WORD_1
	v_fma_f16 v77, v55, v10, -v54
	v_mul_f16_sdwa v54, v55, v10 dst_sel:DWORD dst_unused:UNUSED_PAD src0_sel:DWORD src1_sel:WORD_1
	v_fma_f16 v78, v27, v10, v54
	s_waitcnt lgkmcnt(0)
	v_lshrrev_b32_e32 v27, 16, v56
	v_mul_f16_sdwa v54, v56, v11 dst_sel:DWORD dst_unused:UNUSED_PAD src0_sel:DWORD src1_sel:WORD_1
	v_fma_f16 v79, v27, v11, v54
	v_mul_f16_sdwa v27, v27, v11 dst_sel:DWORD dst_unused:UNUSED_PAD src0_sel:DWORD src1_sel:WORD_1
	v_fma_f16 v56, v56, v11, -v27
	v_add_u32_e32 v27, 0xc00, v40
	ds_read2_b32 v[54:55], v27 offset0:142 offset1:233
	v_add_f16_e32 v59, v59, v62
	v_lshrrev_b32_e32 v80, 16, v57
	v_add_f16_e32 v59, v59, v63
	v_mul_f16_sdwa v81, v80, v4 dst_sel:DWORD dst_unused:UNUSED_PAD src0_sel:DWORD src1_sel:WORD_1
	v_add_f16_e32 v59, v59, v72
	v_fma_f16 v81, v57, v4, -v81
	v_mul_f16_sdwa v57, v57, v4 dst_sel:DWORD dst_unused:UNUSED_PAD src0_sel:DWORD src1_sel:WORD_1
	v_add_f16_e32 v59, v59, v73
	v_fma_f16 v57, v80, v4, v57
	s_waitcnt lgkmcnt(0)
	v_lshrrev_b32_e32 v80, 16, v54
	v_mul_f16_sdwa v82, v54, v5 dst_sel:DWORD dst_unused:UNUSED_PAD src0_sel:DWORD src1_sel:WORD_1
	v_add_f16_e32 v59, v59, v76
	v_fma_f16 v82, v80, v5, v82
	v_mul_f16_sdwa v80, v80, v5 dst_sel:DWORD dst_unused:UNUSED_PAD src0_sel:DWORD src1_sel:WORD_1
	v_add_f16_e32 v59, v59, v77
	v_fma_f16 v54, v54, v5, -v80
	v_lshrrev_b32_e32 v80, 16, v55
	v_add_f16_e32 v59, v59, v56
	v_mul_f16_sdwa v83, v80, v6 dst_sel:DWORD dst_unused:UNUSED_PAD src0_sel:DWORD src1_sel:WORD_1
	v_add_f16_e32 v59, v59, v81
	v_fma_f16 v83, v55, v6, -v83
	v_add_f16_e32 v59, v59, v54
	v_add_f16_e32 v59, v59, v83
	;; [unrolled: 1-line block ×10, first 2 shown]
	v_mul_f16_sdwa v55, v55, v6 dst_sel:DWORD dst_unused:UNUSED_PAD src0_sel:DWORD src1_sel:WORD_1
	v_add_f16_e32 v59, v59, v57
	v_fma_f16 v55, v80, v6, v55
	v_add_f16_e32 v59, v59, v82
	v_add_f16_e32 v59, v59, v55
	v_add_f16_sdwa v58, v59, v58 dst_sel:WORD_1 dst_unused:UNUSED_PAD src0_sel:DWORD src1_sel:DWORD
	v_add_f16_e32 v59, v62, v83
	v_sub_f16_e32 v60, v62, v83
	v_add_f16_e32 v62, v61, v55
	v_sub_f16_e32 v55, v61, v55
	v_mul_f16_e32 v61, 0xba95, v55
	v_or_b32_e32 v58, v58, v52
	v_fma_f16 v52, v59, s13, -v61
	v_add_f16_e32 v52, v52, v65
	v_mul_f16_e32 v65, 0xba95, v60
	v_fma_f16 v80, v62, s13, v65
	v_add_f16_e32 v66, v80, v66
	v_add_f16_e32 v80, v63, v54
	v_sub_f16_e32 v54, v63, v54
	v_add_f16_e32 v63, v64, v82
	v_sub_f16_e32 v64, v64, v82
	v_mul_f16_e32 v82, 0xbbf1, v64
	v_fma_f16 v83, v80, s14, -v82
	v_add_f16_e32 v52, v83, v52
	v_mul_f16_e32 v83, 0xbbf1, v54
	v_fma_f16 v84, v63, s14, v83
	v_add_f16_e32 v66, v84, v66
	v_add_f16_e32 v84, v72, v81
	v_sub_f16_e32 v72, v72, v81
	v_add_f16_e32 v81, v71, v57
	v_sub_f16_e32 v57, v71, v57
	v_mul_f16_e32 v71, 0xbb7b, v57
	;; [unrolled: 10-line block ×4, first 2 shown]
	v_fma_f16 v89, v88, s18, -v78
	v_add_f16_e32 v52, v89, v52
	v_mul_f16_e32 v89, 0xb3a8, v76
	v_fma_f16 v90, v77, s18, v89
	v_add_f16_e32 v66, v90, v66
	v_pack_b32_f16 v13, v52, v66
	v_lshl_add_u32 v52, v12, 2, v49
	v_mul_f16_e32 v12, 0xbb7b, v55
	s_barrier
	ds_write2_b32 v52, v58, v13 offset1:7
	v_fma_f16 v13, v59, s16, -v12
	v_mul_f16_e32 v58, 0xbb7b, v60
	v_add_f16_e32 v13, v13, v67
	v_fma_f16 v66, v62, s16, v58
	v_mul_f16_e32 v67, 0xb3a8, v55
	v_add_f16_e32 v66, v66, v68
	v_fma_f16 v68, v59, s18, -v67
	v_add_f16_e32 v68, v68, v69
	v_mul_f16_e32 v69, 0xb3a8, v60
	v_fma_f16 v90, v62, s18, v69
	v_add_f16_e32 v70, v90, v70
	v_mul_f16_e32 v90, 0xb3a8, v64
	v_fma_f16 v91, v80, s18, -v90
	v_add_f16_e32 v13, v91, v13
	v_mul_f16_e32 v91, 0xb3a8, v54
	v_fma_f16 v92, v63, s18, v91
	v_add_f16_e32 v66, v92, v66
	v_mul_f16_e32 v92, 0x3b7b, v64
	;; [unrolled: 6-line block ×8, first 2 shown]
	v_fma_f16 v105, v88, s17, -v104
	v_add_f16_e32 v68, v105, v68
	v_mul_f16_e32 v105, 0xb94e, v76
	v_fma_f16 v106, v77, s17, v105
	v_add_f16_e32 v70, v106, v70
	v_pack_b32_f16 v13, v13, v66
	v_pack_b32_f16 v66, v68, v70
	ds_write2_b32 v52, v13, v66 offset0:14 offset1:21
	v_fma_f16 v13, v59, s13, v61
	v_add_f16_e32 v13, v13, v37
	v_fma_f16 v37, v62, s13, -v65
	v_fma_f16 v12, v59, s16, v12
	v_add_f16_e32 v33, v37, v33
	v_add_f16_e32 v12, v12, v39
	v_fma_f16 v37, v62, s16, -v58
	v_fma_f16 v39, v62, s18, -v69
	v_add_f16_e32 v34, v37, v34
	v_fma_f16 v37, v59, s18, v67
	v_add_f16_e32 v35, v39, v35
	v_mul_f16_e32 v39, 0x394e, v55
	v_add_f16_e32 v37, v37, v53
	v_fma_f16 v53, v59, s17, -v39
	v_add_f16_e32 v30, v53, v30
	v_mul_f16_e32 v53, 0x394e, v60
	v_fma_f16 v39, v59, s17, v39
	v_add_f16_e32 v23, v39, v23
	v_fma_f16 v39, v62, s17, -v53
	v_add_f16_e32 v22, v39, v22
	v_mul_f16_e32 v39, 0x3bf1, v55
	v_fma_f16 v58, v62, s17, v53
	v_fma_f16 v53, v59, s14, -v39
	v_add_f16_e32 v20, v53, v20
	v_mul_f16_e32 v53, 0x3bf1, v60
	v_fma_f16 v39, v59, s14, v39
	v_add_f16_e32 v16, v39, v16
	v_fma_f16 v39, v62, s14, -v53
	v_add_f16_e32 v14, v39, v14
	v_mul_f16_e32 v39, 0x3770, v55
	v_add_f16_e32 v29, v58, v29
	v_fma_f16 v58, v62, s14, v53
	v_fma_f16 v53, v59, s12, -v39
	v_add_f16_e32 v21, v53, v21
	v_mul_f16_e32 v53, 0x3770, v60
	v_fma_f16 v39, v59, s12, v39
	v_add_f16_e32 v17, v39, v17
	v_fma_f16 v39, v62, s12, -v53
	v_add_f16_e32 v15, v39, v15
	v_fma_f16 v39, v80, s14, v82
	v_add_f16_e32 v13, v39, v13
	v_fma_f16 v39, v63, s14, -v83
	v_add_f16_e32 v33, v39, v33
	;; [unrolled: 4-line block ×4, first 2 shown]
	v_mul_f16_e32 v39, 0x3770, v64
	v_fma_f16 v55, v62, s12, v53
	v_fma_f16 v53, v80, s12, -v39
	v_add_f16_e32 v30, v53, v30
	v_mul_f16_e32 v53, 0x3770, v54
	v_fma_f16 v39, v80, s12, v39
	v_add_f16_e32 v23, v39, v23
	v_fma_f16 v39, v63, s12, -v53
	v_add_f16_e32 v22, v39, v22
	v_mul_f16_e32 v39, 0xba95, v64
	v_add_f16_e32 v19, v55, v19
	v_fma_f16 v55, v63, s12, v53
	v_fma_f16 v53, v80, s13, -v39
	v_add_f16_e32 v20, v53, v20
	v_mul_f16_e32 v53, 0xba95, v54
	v_fma_f16 v39, v80, s13, v39
	v_add_f16_e32 v16, v39, v16
	v_fma_f16 v39, v63, s13, -v53
	v_add_f16_e32 v14, v39, v14
	v_mul_f16_e32 v39, 0xb94e, v64
	v_add_f16_e32 v29, v55, v29
	v_fma_f16 v55, v63, s13, v53
	v_fma_f16 v53, v80, s17, -v39
	v_add_f16_e32 v21, v53, v21
	v_mul_f16_e32 v53, 0xb94e, v54
	v_fma_f16 v39, v80, s17, v39
	v_add_f16_e32 v17, v39, v17
	v_fma_f16 v39, v63, s17, -v53
	v_add_f16_e32 v15, v39, v15
	v_fma_f16 v39, v84, s16, v71
	v_add_f16_e32 v13, v39, v13
	v_fma_f16 v39, v81, s16, -v85
	v_add_f16_e32 v33, v39, v33
	;; [unrolled: 4-line block ×4, first 2 shown]
	v_mul_f16_e32 v39, 0xbbf1, v57
	v_fma_f16 v54, v63, s17, v53
	v_fma_f16 v53, v84, s14, -v39
	v_add_f16_e32 v30, v53, v30
	v_mul_f16_e32 v53, 0xbbf1, v72
	v_fma_f16 v39, v84, s14, v39
	v_add_f16_e32 v23, v39, v23
	v_fma_f16 v39, v81, s14, -v53
	v_add_f16_e32 v22, v39, v22
	v_mul_f16_e32 v39, 0x33a8, v57
	v_add_f16_e32 v19, v54, v19
	v_fma_f16 v54, v81, s14, v53
	v_fma_f16 v53, v84, s18, -v39
	v_add_f16_e32 v20, v53, v20
	v_mul_f16_e32 v53, 0x33a8, v72
	v_fma_f16 v39, v84, s18, v39
	v_add_f16_e32 v16, v39, v16
	v_fma_f16 v39, v81, s18, -v53
	v_add_f16_e32 v14, v39, v14
	v_mul_f16_e32 v39, 0x3a95, v57
	v_add_f16_e32 v29, v54, v29
	v_fma_f16 v54, v81, s18, v53
	v_fma_f16 v53, v84, s13, -v39
	v_add_f16_e32 v21, v53, v21
	v_mul_f16_e32 v53, 0x3a95, v72
	v_fma_f16 v39, v84, s13, v39
	v_add_f16_e32 v17, v39, v17
	v_fma_f16 v39, v81, s13, -v53
	v_add_f16_e32 v15, v39, v15
	v_fma_f16 v39, v86, s17, v79
	v_add_f16_e32 v13, v39, v13
	v_fma_f16 v39, v73, s17, -v87
	v_add_f16_e32 v33, v39, v33
	;; [unrolled: 4-line block ×3, first 2 shown]
	v_fma_f16 v39, v86, s13, v100
	v_add_f16_e32 v18, v58, v18
	v_add_f16_e32 v37, v39, v37
	v_fma_f16 v39, v73, s13, -v101
	v_add_f16_e32 v18, v55, v18
	v_add_f16_e32 v35, v39, v35
	v_mul_f16_e32 v39, 0x33a8, v74
	v_add_f16_e32 v18, v54, v18
	v_fma_f16 v54, v81, s13, v53
	v_fma_f16 v53, v86, s18, -v39
	v_add_f16_e32 v30, v53, v30
	v_mul_f16_e32 v53, 0x33a8, v56
	v_fma_f16 v39, v86, s18, v39
	v_add_f16_e32 v23, v39, v23
	v_fma_f16 v39, v73, s18, -v53
	v_add_f16_e32 v22, v39, v22
	v_mul_f16_e32 v39, 0x3770, v74
	v_add_f16_e32 v19, v54, v19
	v_fma_f16 v54, v73, s18, v53
	v_fma_f16 v53, v86, s12, -v39
	v_add_f16_e32 v20, v53, v20
	v_mul_f16_e32 v53, 0x3770, v56
	v_fma_f16 v39, v86, s12, v39
	v_add_f16_e32 v16, v39, v16
	v_fma_f16 v39, v73, s12, -v53
	v_add_f16_e32 v14, v39, v14
	v_mul_f16_e32 v39, 0xbb7b, v74
	v_add_f16_e32 v29, v54, v29
	v_fma_f16 v54, v73, s12, v53
	v_fma_f16 v53, v86, s16, -v39
	v_add_f16_e32 v21, v53, v21
	v_mul_f16_e32 v53, 0xbb7b, v56
	v_fma_f16 v39, v86, s16, v39
	v_add_f16_e32 v17, v39, v17
	v_fma_f16 v39, v73, s16, -v53
	v_add_f16_e32 v15, v39, v15
	v_fma_f16 v39, v88, s18, v78
	v_add_f16_e32 v13, v39, v13
	v_fma_f16 v39, v77, s18, -v89
	v_add_f16_e32 v33, v39, v33
	v_fma_f16 v39, v88, s12, v102
	v_add_f16_e32 v12, v39, v12
	v_fma_f16 v39, v77, s12, -v103
	;; [unrolled: 4-line block ×3, first 2 shown]
	v_add_f16_e32 v35, v39, v35
	v_mul_f16_e32 v39, 0x3a95, v75
	v_add_f16_e32 v18, v54, v18
	v_fma_f16 v54, v73, s16, v53
	v_fma_f16 v53, v88, s13, -v39
	v_add_f16_e32 v30, v53, v30
	v_mul_f16_e32 v53, 0x3a95, v76
	v_fma_f16 v39, v88, s13, v39
	v_add_f16_e32 v23, v39, v23
	v_fma_f16 v39, v77, s13, -v53
	v_add_f16_e32 v22, v39, v22
	v_mul_f16_e32 v39, 0xbb7b, v75
	v_add_f16_e32 v19, v54, v19
	v_fma_f16 v54, v77, s13, v53
	v_fma_f16 v53, v88, s16, -v39
	v_add_f16_e32 v20, v53, v20
	v_mul_f16_e32 v53, 0xbb7b, v76
	v_fma_f16 v39, v88, s16, v39
	v_add_f16_e32 v16, v39, v16
	v_fma_f16 v39, v77, s16, -v53
	v_add_f16_e32 v14, v39, v14
	v_mul_f16_e32 v39, 0x3bf1, v75
	v_add_f16_e32 v29, v54, v29
	v_fma_f16 v54, v77, s16, v53
	v_fma_f16 v53, v88, s14, -v39
	v_add_f16_e32 v21, v53, v21
	v_mul_f16_e32 v53, 0x3bf1, v76
	v_fma_f16 v39, v88, s14, v39
	v_add_f16_e32 v18, v54, v18
	v_fma_f16 v54, v77, s14, v53
	v_add_f16_e32 v17, v39, v17
	v_fma_f16 v39, v77, s14, -v53
	v_add_f16_e32 v19, v54, v19
	v_add_f16_e32 v15, v39, v15
	v_pack_b32_f16 v29, v30, v29
	v_pack_b32_f16 v18, v20, v18
	ds_write2_b32 v52, v29, v18 offset0:28 offset1:35
	v_pack_b32_f16 v18, v21, v19
	v_pack_b32_f16 v15, v17, v15
	v_mad_u64_u32 v[29:30], s[4:5], v47, 48, s[4:5]
	ds_write2_b32 v52, v18, v15 offset0:42 offset1:49
	v_pack_b32_f16 v14, v16, v14
	v_pack_b32_f16 v15, v23, v22
	ds_write2_b32 v52, v14, v15 offset0:56 offset1:63
	v_pack_b32_f16 v14, v37, v35
	v_pack_b32_f16 v12, v12, v34
	ds_write2_b32 v52, v14, v12 offset0:70 offset1:77
	v_pack_b32_f16 v12, v13, v33
	ds_write_b32 v52, v12 offset:336
	s_waitcnt lgkmcnt(0)
	s_barrier
	global_load_dwordx4 v[12:15], v[29:30], off offset:336
	global_load_dwordx4 v[16:19], v[29:30], off offset:352
	;; [unrolled: 1-line block ×3, first 2 shown]
	ds_read2_b32 v[29:30], v32 offset0:54 offset1:145
	ds_read2_b32 v[33:34], v36 offset0:108 offset1:199
	s_waitcnt lgkmcnt(1)
	v_lshrrev_b32_e32 v35, 16, v29
	v_lshrrev_b32_e32 v37, 16, v30
	s_waitcnt lgkmcnt(0)
	v_lshrrev_b32_e32 v39, 16, v33
	v_lshrrev_b32_e32 v55, 16, v34
	s_waitcnt vmcnt(2)
	v_mul_f16_sdwa v53, v35, v13 dst_sel:DWORD dst_unused:UNUSED_PAD src0_sel:DWORD src1_sel:WORD_1
	v_fma_f16 v53, v29, v13, -v53
	v_mul_f16_sdwa v29, v29, v13 dst_sel:DWORD dst_unused:UNUSED_PAD src0_sel:DWORD src1_sel:WORD_1
	v_fma_f16 v35, v35, v13, v29
	v_mul_f16_sdwa v29, v37, v14 dst_sel:DWORD dst_unused:UNUSED_PAD src0_sel:DWORD src1_sel:WORD_1
	v_fma_f16 v54, v30, v14, -v29
	v_mul_f16_sdwa v29, v30, v14 dst_sel:DWORD dst_unused:UNUSED_PAD src0_sel:DWORD src1_sel:WORD_1
	v_fma_f16 v56, v37, v14, v29
	v_mul_f16_sdwa v29, v33, v15 dst_sel:DWORD dst_unused:UNUSED_PAD src0_sel:DWORD src1_sel:WORD_1
	v_fma_f16 v67, v39, v15, v29
	v_mul_f16_sdwa v29, v39, v15 dst_sel:DWORD dst_unused:UNUSED_PAD src0_sel:DWORD src1_sel:WORD_1
	v_fma_f16 v66, v33, v15, -v29
	ds_read2_b32 v[29:30], v31 offset0:34 offset1:125
	s_waitcnt vmcnt(1)
	v_mul_f16_sdwa v33, v55, v16 dst_sel:DWORD dst_unused:UNUSED_PAD src0_sel:DWORD src1_sel:WORD_1
	v_fma_f16 v70, v34, v16, -v33
	v_mul_f16_sdwa v33, v34, v16 dst_sel:DWORD dst_unused:UNUSED_PAD src0_sel:DWORD src1_sel:WORD_1
	v_fma_f16 v55, v55, v16, v33
	s_waitcnt lgkmcnt(0)
	v_lshrrev_b32_e32 v33, 16, v29
	v_mul_f16_sdwa v34, v29, v17 dst_sel:DWORD dst_unused:UNUSED_PAD src0_sel:DWORD src1_sel:WORD_1
	v_fma_f16 v71, v33, v17, v34
	v_mul_f16_sdwa v33, v33, v17 dst_sel:DWORD dst_unused:UNUSED_PAD src0_sel:DWORD src1_sel:WORD_1
	v_fma_f16 v72, v29, v17, -v33
	ds_read2_b32 v[33:34], v38 offset0:88 offset1:179
	v_lshrrev_b32_e32 v29, 16, v30
	v_mul_f16_sdwa v37, v29, v18 dst_sel:DWORD dst_unused:UNUSED_PAD src0_sel:DWORD src1_sel:WORD_1
	v_fma_f16 v73, v30, v18, -v37
	v_mul_f16_sdwa v30, v30, v18 dst_sel:DWORD dst_unused:UNUSED_PAD src0_sel:DWORD src1_sel:WORD_1
	v_fma_f16 v74, v29, v18, v30
	s_waitcnt lgkmcnt(0)
	v_lshrrev_b32_e32 v29, 16, v33
	v_mul_f16_sdwa v30, v33, v19 dst_sel:DWORD dst_unused:UNUSED_PAD src0_sel:DWORD src1_sel:WORD_1
	v_fma_f16 v75, v29, v19, v30
	v_mul_f16_sdwa v29, v29, v19 dst_sel:DWORD dst_unused:UNUSED_PAD src0_sel:DWORD src1_sel:WORD_1
	v_fma_f16 v76, v33, v19, -v29
	ds_read2_b32 v[29:30], v27 offset0:142 offset1:233
	v_lshrrev_b32_e32 v33, 16, v34
	s_waitcnt vmcnt(0)
	v_mul_f16_sdwa v37, v33, v20 dst_sel:DWORD dst_unused:UNUSED_PAD src0_sel:DWORD src1_sel:WORD_1
	v_fma_f16 v77, v34, v20, -v37
	v_mul_f16_sdwa v34, v34, v20 dst_sel:DWORD dst_unused:UNUSED_PAD src0_sel:DWORD src1_sel:WORD_1
	v_fma_f16 v78, v33, v20, v34
	s_waitcnt lgkmcnt(0)
	v_lshrrev_b32_e32 v33, 16, v29
	v_mul_f16_sdwa v34, v29, v21 dst_sel:DWORD dst_unused:UNUSED_PAD src0_sel:DWORD src1_sel:WORD_1
	v_fma_f16 v61, v33, v21, v34
	v_mul_f16_sdwa v33, v33, v21 dst_sel:DWORD dst_unused:UNUSED_PAD src0_sel:DWORD src1_sel:WORD_1
	v_fma_f16 v59, v29, v21, -v33
	v_lshrrev_b32_e32 v29, 16, v30
	ds_read_b32 v33, v40 offset:4368
	v_mul_f16_sdwa v34, v29, v22 dst_sel:DWORD dst_unused:UNUSED_PAD src0_sel:DWORD src1_sel:WORD_1
	v_fma_f16 v34, v30, v22, -v34
	v_mul_f16_sdwa v30, v30, v22 dst_sel:DWORD dst_unused:UNUSED_PAD src0_sel:DWORD src1_sel:WORD_1
	v_fma_f16 v62, v29, v22, v30
	ds_read2_b32 v[29:30], v40 offset1:91
	s_waitcnt lgkmcnt(1)
	v_lshrrev_b32_e32 v37, 16, v33
	v_mul_f16_sdwa v39, v37, v23 dst_sel:DWORD dst_unused:UNUSED_PAD src0_sel:DWORD src1_sel:WORD_1
	v_fma_f16 v57, v33, v23, -v39
	v_mul_f16_sdwa v33, v33, v23 dst_sel:DWORD dst_unused:UNUSED_PAD src0_sel:DWORD src1_sel:WORD_1
	v_fma_f16 v58, v37, v23, v33
	s_waitcnt lgkmcnt(0)
	v_lshrrev_b32_e32 v33, 16, v30
	v_mul_f16_sdwa v37, v30, v12 dst_sel:DWORD dst_unused:UNUSED_PAD src0_sel:DWORD src1_sel:WORD_1
	v_fma_f16 v60, v33, v12, v37
	v_mul_f16_sdwa v33, v33, v12 dst_sel:DWORD dst_unused:UNUSED_PAD src0_sel:DWORD src1_sel:WORD_1
	v_fma_f16 v30, v30, v12, -v33
	v_add_f16_e32 v33, v30, v29
	v_add_f16_sdwa v37, v60, v29 dst_sel:DWORD dst_unused:UNUSED_PAD src0_sel:DWORD src1_sel:WORD_1
	v_add_f16_e32 v33, v33, v53
	v_add_f16_e32 v37, v37, v35
	;; [unrolled: 1-line block ×21, first 2 shown]
	v_add_f16_sdwa v37, v37, v58 dst_sel:WORD_1 dst_unused:UNUSED_PAD src0_sel:DWORD src1_sel:DWORD
	v_or_b32_e32 v79, v37, v33
	v_add_f16_e32 v33, v60, v58
	v_sub_f16_e32 v60, v60, v58
	v_add_f16_e32 v39, v30, v57
	v_sub_f16_e32 v37, v30, v57
	;; [unrolled: 2-line block ×4, first 2 shown]
	v_mul_f16_e32 v69, 0xb770, v60
	v_fma_f16 v30, v39, s12, -v69
	v_mul_f16_e32 v63, 0xba95, v62
	v_add_f16_e32 v30, v30, v29
	v_fma_f16 v35, v57, s13, -v63
	v_mul_f16_e32 v68, 0xb770, v37
	v_add_f16_e32 v30, v35, v30
	v_fma_f16 v35, v33, s12, v68
	v_add_f16_sdwa v53, v35, v29 dst_sel:DWORD dst_unused:UNUSED_PAD src0_sel:DWORD src1_sel:WORD_1
	v_mul_f16_e32 v35, 0xba95, v58
	v_fma_f16 v64, v34, s13, v35
	v_sub_f16_e32 v80, v56, v61
	v_add_f16_e32 v53, v64, v53
	v_add_f16_e32 v64, v54, v59
	v_sub_f16_e32 v65, v54, v59
	v_mul_f16_e32 v81, 0xbbf1, v80
	v_add_f16_e32 v59, v56, v61
	v_fma_f16 v54, v64, s14, -v81
	v_mul_f16_e32 v61, 0xbbf1, v65
	v_add_f16_e32 v82, v66, v77
	v_sub_f16_e32 v77, v66, v77
	v_add_f16_e32 v66, v67, v78
	v_sub_f16_e32 v78, v67, v78
	v_add_f16_e32 v30, v54, v30
	v_fma_f16 v54, v59, s14, v61
	v_mul_f16_e32 v83, 0xbb7b, v78
	v_add_f16_e32 v53, v54, v53
	v_fma_f16 v54, v82, s16, -v83
	v_mul_f16_e32 v67, 0xbb7b, v77
	v_add_f16_e32 v84, v70, v76
	v_sub_f16_e32 v70, v70, v76
	v_add_f16_e32 v76, v55, v75
	v_sub_f16_e32 v75, v55, v75
	v_add_f16_e32 v30, v54, v30
	v_fma_f16 v54, v66, s16, v67
	;; [unrolled: 10-line block ×3, first 2 shown]
	v_mul_f16_e32 v74, 0xb3a8, v71
	v_add_f16_e32 v53, v54, v53
	v_fma_f16 v54, v87, s18, -v74
	v_mul_f16_e32 v88, 0xb3a8, v72
	v_add_f16_e32 v30, v54, v30
	v_fma_f16 v54, v73, s18, v88
	v_add_f16_e32 v53, v54, v53
	v_pack_b32_f16 v30, v30, v53
	ds_write2_b32 v40, v79, v30 offset1:91
	v_mul_f16_e32 v30, 0xba95, v60
	v_fma_f16 v53, v39, s13, -v30
	v_mul_f16_e32 v55, 0xbb7b, v62
	v_add_f16_e32 v53, v53, v29
	v_fma_f16 v54, v57, s16, -v55
	v_mul_f16_e32 v56, 0xba95, v37
	v_add_f16_e32 v53, v54, v53
	v_fma_f16 v54, v33, s13, v56
	v_mul_f16_e32 v79, 0xbb7b, v58
	v_add_f16_sdwa v54, v54, v29 dst_sel:DWORD dst_unused:UNUSED_PAD src0_sel:DWORD src1_sel:WORD_1
	v_fma_f16 v89, v34, s16, v79
	v_add_f16_e32 v54, v89, v54
	v_mul_f16_e32 v89, 0xbbf1, v60
	v_fma_f16 v90, v39, s14, -v89
	v_mul_f16_e32 v91, 0xb3a8, v62
	v_add_f16_e32 v90, v90, v29
	v_fma_f16 v92, v57, s18, -v91
	v_add_f16_e32 v90, v92, v90
	v_mul_f16_e32 v92, 0xbbf1, v37
	v_fma_f16 v93, v33, s14, v92
	v_mul_f16_e32 v94, 0xb3a8, v58
	v_add_f16_sdwa v93, v93, v29 dst_sel:DWORD dst_unused:UNUSED_PAD src0_sel:DWORD src1_sel:WORD_1
	v_fma_f16 v95, v34, s18, v94
	v_add_f16_e32 v93, v95, v93
	v_mul_f16_e32 v95, 0xb3a8, v80
	v_fma_f16 v96, v64, s18, -v95
	v_add_f16_e32 v53, v96, v53
	v_mul_f16_e32 v96, 0xb3a8, v65
	v_fma_f16 v97, v59, s18, v96
	v_add_f16_e32 v54, v97, v54
	v_mul_f16_e32 v97, 0x3b7b, v80
	v_fma_f16 v98, v64, s16, -v97
	v_add_f16_e32 v90, v98, v90
	v_mul_f16_e32 v98, 0x3b7b, v65
	;; [unrolled: 6-line block ×8, first 2 shown]
	v_fma_f16 v111, v73, s17, v110
	v_add_f16_e32 v93, v111, v93
	v_pack_b32_f16 v53, v53, v54
	v_pack_b32_f16 v54, v90, v93
	ds_write2_b32 v32, v53, v54 offset0:54 offset1:145
	v_mul_f16_e32 v32, 0xb3a8, v60
	v_fma_f16 v53, v39, s18, -v32
	v_mul_f16_e32 v54, 0x3770, v62
	v_add_f16_e32 v53, v53, v29
	v_fma_f16 v90, v57, s12, -v54
	v_fma_f16 v32, v39, s18, v32
	v_add_f16_e32 v53, v90, v53
	v_mul_f16_e32 v90, 0xb3a8, v37
	v_add_f16_e32 v32, v32, v29
	v_fma_f16 v54, v57, s12, v54
	v_mul_f16_e32 v111, 0x3770, v58
	v_add_f16_e32 v32, v54, v32
	v_fma_f16 v54, v33, s18, -v90
	v_fma_f16 v93, v33, s18, v90
	v_add_f16_sdwa v54, v54, v29 dst_sel:DWORD dst_unused:UNUSED_PAD src0_sel:DWORD src1_sel:WORD_1
	v_fma_f16 v90, v34, s12, -v111
	v_add_f16_e32 v54, v90, v54
	v_mul_f16_e32 v90, 0xb94e, v80
	v_fma_f16 v112, v34, s12, v111
	v_fma_f16 v111, v64, s17, -v90
	v_add_f16_e32 v53, v111, v53
	v_mul_f16_e32 v111, 0xb94e, v65
	v_fma_f16 v90, v64, s17, v90
	v_add_f16_e32 v32, v90, v32
	v_fma_f16 v90, v59, s17, -v111
	v_add_f16_sdwa v93, v93, v29 dst_sel:DWORD dst_unused:UNUSED_PAD src0_sel:DWORD src1_sel:WORD_1
	v_add_f16_e32 v54, v90, v54
	v_mul_f16_e32 v90, 0x3a95, v78
	v_add_f16_e32 v93, v112, v93
	v_fma_f16 v112, v59, s17, v111
	v_fma_f16 v111, v82, s13, -v90
	v_add_f16_e32 v53, v111, v53
	v_mul_f16_e32 v111, 0x3a95, v77
	v_fma_f16 v90, v82, s13, v90
	v_add_f16_e32 v32, v90, v32
	v_fma_f16 v90, v66, s13, -v111
	v_add_f16_e32 v54, v90, v54
	v_mul_f16_e32 v90, 0xbb7b, v75
	v_add_f16_e32 v93, v112, v93
	v_fma_f16 v112, v66, s13, v111
	v_fma_f16 v111, v84, s16, -v90
	v_add_f16_e32 v53, v111, v53
	v_mul_f16_e32 v111, 0xbb7b, v70
	v_fma_f16 v90, v84, s16, v90
	v_add_f16_e32 v32, v90, v32
	v_fma_f16 v90, v76, s16, -v111
	v_add_f16_e32 v93, v112, v93
	v_fma_f16 v112, v76, s16, v111
	v_add_f16_e32 v54, v90, v54
	v_mul_f16_e32 v90, 0x3bf1, v71
	v_add_f16_e32 v93, v112, v93
	v_fma_f16 v111, v87, s14, -v90
	v_mul_f16_e32 v112, 0x3bf1, v72
	v_add_f16_e32 v111, v111, v53
	v_fma_f16 v53, v73, s14, v112
	v_add_f16_e32 v93, v53, v93
	v_fma_f16 v53, v87, s14, v90
	v_add_f16_e32 v53, v53, v32
	v_fma_f16 v32, v73, s14, -v112
	v_add_f16_e32 v54, v32, v54
	v_pack_b32_f16 v32, v111, v93
	v_pack_b32_f16 v90, v53, v54
	v_fma_f16 v30, v39, s13, v30
	ds_write2_b32 v31, v32, v90 offset0:34 offset1:125
	v_add_f16_e32 v30, v30, v29
	v_fma_f16 v31, v57, s16, v55
	v_add_f16_e32 v30, v31, v30
	v_fma_f16 v31, v39, s14, v89
	v_add_f16_e32 v31, v31, v29
	v_fma_f16 v32, v57, s18, v91
	v_add_f16_e32 v31, v32, v31
	v_fma_f16 v32, v64, s18, v95
	v_add_f16_e32 v30, v32, v30
	v_fma_f16 v32, v64, s16, v97
	v_add_f16_e32 v31, v32, v31
	v_fma_f16 v32, v82, s17, v99
	v_add_f16_e32 v30, v32, v30
	v_fma_f16 v32, v82, s12, v101
	v_add_f16_e32 v31, v32, v31
	v_fma_f16 v32, v84, s14, v103
	v_add_f16_e32 v30, v32, v30
	v_fma_f16 v32, v84, s13, v105
	v_add_f16_e32 v32, v32, v31
	v_fma_f16 v31, v87, s12, v107
	v_add_f16_e32 v31, v31, v30
	v_fma_f16 v30, v87, s17, v109
	v_add_f16_e32 v30, v30, v32
	v_fma_f16 v32, v33, s13, -v56
	v_add_f16_sdwa v32, v32, v29 dst_sel:DWORD dst_unused:UNUSED_PAD src0_sel:DWORD src1_sel:WORD_1
	v_fma_f16 v55, v34, s16, -v79
	v_add_f16_e32 v32, v55, v32
	v_fma_f16 v55, v33, s14, -v92
	v_add_f16_sdwa v55, v55, v29 dst_sel:DWORD dst_unused:UNUSED_PAD src0_sel:DWORD src1_sel:WORD_1
	v_fma_f16 v56, v34, s18, -v94
	v_add_f16_e32 v55, v56, v55
	v_fma_f16 v56, v59, s18, -v96
	v_add_f16_e32 v32, v56, v32
	;; [unrolled: 2-line block ×9, first 2 shown]
	v_pack_b32_f16 v32, v30, v56
	v_pack_b32_f16 v79, v31, v55
	ds_write2_b32 v27, v32, v79 offset0:142 offset1:233
	v_mul_f16_e32 v32, 0xbb7b, v60
	v_mul_f16_e32 v60, 0xb94e, v60
	v_fma_f16 v27, v39, s12, v69
	v_fma_f16 v69, v39, s16, -v32
	v_fma_f16 v32, v39, s16, v32
	v_fma_f16 v79, v39, s17, -v60
	;; [unrolled: 2-line block ×3, first 2 shown]
	v_mul_f16_e32 v68, 0xbb7b, v37
	v_mul_f16_e32 v37, 0xb94e, v37
	v_fma_f16 v89, v33, s16, v68
	v_fma_f16 v68, v33, s16, -v68
	v_fma_f16 v90, v33, s17, v37
	v_fma_f16 v33, v33, s17, -v37
	v_add_f16_e32 v27, v27, v29
	v_add_f16_sdwa v37, v60, v29 dst_sel:DWORD dst_unused:UNUSED_PAD src0_sel:DWORD src1_sel:WORD_1
	v_add_f16_e32 v60, v69, v29
	v_add_f16_sdwa v69, v89, v29 dst_sel:DWORD dst_unused:UNUSED_PAD src0_sel:DWORD src1_sel:WORD_1
	;; [unrolled: 2-line block ×5, first 2 shown]
	v_fma_f16 v33, v57, s13, v63
	v_add_f16_e32 v27, v33, v27
	v_fma_f16 v33, v64, s14, v81
	v_add_f16_e32 v27, v33, v27
	;; [unrolled: 2-line block ×4, first 2 shown]
	v_fma_f16 v33, v87, s18, v74
	v_mul_f16_e32 v63, 0x394e, v62
	v_add_f16_e32 v27, v33, v27
	v_fma_f16 v33, v57, s17, v63
	v_mul_f16_e32 v62, 0x3bf1, v62
	v_add_f16_e32 v32, v33, v32
	v_fma_f16 v33, v57, s14, v62
	v_add_f16_e32 v33, v33, v39
	v_mul_f16_e32 v39, 0x3770, v80
	v_fma_f16 v74, v64, s12, v39
	v_add_f16_e32 v32, v74, v32
	v_mul_f16_e32 v74, 0xba95, v80
	;; [unrolled: 3-line block ×3, first 2 shown]
	v_fma_f16 v81, v82, s14, v80
	v_mul_f16_e32 v78, 0x33a8, v78
	v_add_f16_e32 v32, v81, v32
	v_fma_f16 v81, v82, s18, v78
	v_add_f16_e32 v33, v81, v33
	v_mul_f16_e32 v81, 0x33a8, v75
	v_fma_f16 v83, v84, s18, v81
	v_mul_f16_e32 v75, 0x3770, v75
	v_fma_f16 v63, v57, s17, -v63
	v_fma_f16 v57, v57, s14, -v62
	v_add_f16_e32 v32, v83, v32
	v_fma_f16 v83, v84, s12, v75
	v_mul_f16_e32 v85, 0x3a95, v71
	v_add_f16_e32 v60, v63, v60
	v_mul_f16_e32 v63, 0x394e, v58
	v_add_f16_e32 v57, v57, v79
	v_mul_f16_e32 v58, 0x3bf1, v58
	v_fma_f16 v39, v64, s12, -v39
	v_fma_f16 v64, v64, s13, -v74
	v_add_f16_e32 v83, v83, v33
	v_fma_f16 v33, v87, s13, v85
	v_mul_f16_e32 v71, 0xbb7b, v71
	v_fma_f16 v62, v34, s14, v58
	v_add_f16_e32 v57, v64, v57
	v_mul_f16_e32 v64, 0xba95, v65
	v_add_f16_e32 v33, v33, v32
	v_fma_f16 v32, v87, s16, v71
	v_add_f16_e32 v62, v62, v89
	v_add_f16_e32 v39, v39, v60
	v_mul_f16_e32 v60, 0x3770, v65
	v_fma_f16 v65, v59, s13, v64
	v_add_f16_e32 v32, v32, v83
	v_fma_f16 v83, v34, s17, v63
	v_add_f16_e32 v62, v65, v62
	v_fma_f16 v65, v82, s14, -v80
	v_add_f16_e32 v69, v83, v69
	v_fma_f16 v79, v59, s12, v60
	v_add_f16_e32 v39, v65, v39
	v_mul_f16_e32 v65, 0xbbf1, v77
	v_add_f16_e32 v69, v79, v69
	v_fma_f16 v74, v66, s14, v65
	v_add_f16_e32 v69, v74, v69
	v_fma_f16 v74, v82, s18, -v78
	v_add_f16_e32 v57, v74, v57
	v_mul_f16_e32 v74, 0x33a8, v77
	v_fma_f16 v77, v66, s18, v74
	v_add_f16_e32 v62, v77, v62
	v_fma_f16 v77, v84, s18, -v81
	v_add_f16_e32 v39, v77, v39
	v_mul_f16_e32 v77, 0x33a8, v70
	v_fma_f16 v75, v84, s12, -v75
	v_mul_f16_e32 v70, 0x3770, v70
	v_add_f16_e32 v57, v75, v57
	v_fma_f16 v75, v76, s12, v70
	v_add_f16_e32 v62, v75, v62
	v_fma_f16 v75, v87, s13, -v85
	v_fma_f16 v71, v87, s16, -v71
	v_fma_f16 v78, v76, s18, v77
	v_add_f16_e32 v39, v75, v39
	v_mul_f16_e32 v75, 0x3a95, v72
	v_add_f16_e32 v57, v71, v57
	v_mul_f16_e32 v71, 0xbb7b, v72
	v_add_f16_e32 v69, v78, v69
	v_fma_f16 v78, v73, s13, v75
	v_fma_f16 v72, v73, s16, v71
	v_add_f16_e32 v69, v78, v69
	v_add_f16_e32 v62, v72, v62
	v_pack_b32_f16 v39, v39, v69
	v_pack_b32_f16 v57, v57, v62
	ds_write2_b32 v36, v39, v57 offset0:108 offset1:199
	v_fma_f16 v39, v34, s17, -v63
	v_fma_f16 v57, v34, s14, -v58
	v_add_f16_e32 v39, v39, v68
	v_add_f16_e32 v29, v57, v29
	v_fma_f16 v57, v59, s12, -v60
	v_add_f16_e32 v39, v57, v39
	v_fma_f16 v57, v59, s13, -v64
	;; [unrolled: 2-line block ×6, first 2 shown]
	v_fma_f16 v34, v34, s13, -v35
	v_add_f16_e32 v57, v57, v29
	v_fma_f16 v29, v73, s13, -v75
	v_add_f16_e32 v34, v34, v37
	;; [unrolled: 2-line block ×5, first 2 shown]
	v_add_f16_e32 v34, v35, v34
	v_fma_f16 v35, v76, s17, -v86
	v_pack_b32_f16 v39, v32, v57
	v_pack_b32_f16 v58, v33, v29
	v_add_f16_e32 v34, v35, v34
	v_fma_f16 v35, v73, s18, -v88
	ds_write2_b32 v38, v39, v58 offset0:88 offset1:179
	v_add_f16_e32 v58, v35, v34
	v_pack_b32_f16 v34, v27, v58
	ds_write_b32 v40, v34 offset:4368
	v_mov_b32_e32 v34, s15
	v_addc_co_u32_e64 v37, vcc, 0, v34, s[2:3]
	s_movk_i32 s2, 0x1000
	v_add_co_u32_e32 v34, vcc, s2, v24
	v_addc_co_u32_e32 v35, vcc, 0, v37, vcc
	s_waitcnt lgkmcnt(0)
	s_barrier
	global_load_dword v39, v[34:35], off offset:636
	s_movk_i32 s2, 0x127c
	v_add_co_u32_e32 v34, vcc, s2, v24
	v_addc_co_u32_e32 v35, vcc, 0, v37, vcc
	global_load_dword v37, v[34:35], off offset:676
	global_load_dword v61, v[34:35], off offset:1352
	;; [unrolled: 1-line block ×6, first 2 shown]
	ds_read2_b32 v[59:60], v40 offset1:169
	s_waitcnt lgkmcnt(0)
	v_lshrrev_b32_e32 v66, 16, v59
	s_waitcnt vmcnt(6)
	v_mul_f16_sdwa v67, v59, v39 dst_sel:DWORD dst_unused:UNUSED_PAD src0_sel:DWORD src1_sel:WORD_1
	v_fma_f16 v67, v66, v39, v67
	v_mul_f16_sdwa v66, v66, v39 dst_sel:DWORD dst_unused:UNUSED_PAD src0_sel:DWORD src1_sel:WORD_1
	v_fma_f16 v39, v59, v39, -v66
	v_lshrrev_b32_e32 v66, 16, v60
	s_waitcnt vmcnt(5)
	v_mul_f16_sdwa v59, v66, v37 dst_sel:DWORD dst_unused:UNUSED_PAD src0_sel:DWORD src1_sel:WORD_1
	v_fma_f16 v68, v60, v37, -v59
	v_mul_f16_sdwa v69, v60, v37 dst_sel:DWORD dst_unused:UNUSED_PAD src0_sel:DWORD src1_sel:WORD_1
	ds_read2_b32 v[59:60], v36 offset0:82 offset1:251
	v_fma_f16 v37, v66, v37, v69
	v_pack_b32_f16 v39, v39, v67
	v_pack_b32_f16 v37, v68, v37
	ds_write2_b32 v40, v39, v37 offset1:169
	s_waitcnt lgkmcnt(1)
	v_lshrrev_b32_e32 v37, 16, v59
	s_waitcnt vmcnt(4)
	v_mul_f16_sdwa v39, v59, v61 dst_sel:DWORD dst_unused:UNUSED_PAD src0_sel:DWORD src1_sel:WORD_1
	v_fma_f16 v39, v37, v61, v39
	v_mul_f16_sdwa v37, v37, v61 dst_sel:DWORD dst_unused:UNUSED_PAD src0_sel:DWORD src1_sel:WORD_1
	v_fma_f16 v37, v59, v61, -v37
	v_lshrrev_b32_e32 v61, 16, v60
	s_waitcnt vmcnt(3)
	v_mul_f16_sdwa v59, v61, v62 dst_sel:DWORD dst_unused:UNUSED_PAD src0_sel:DWORD src1_sel:WORD_1
	v_fma_f16 v66, v60, v62, -v59
	v_mul_f16_sdwa v67, v60, v62 dst_sel:DWORD dst_unused:UNUSED_PAD src0_sel:DWORD src1_sel:WORD_1
	ds_read2_b32 v[59:60], v38 offset0:36 offset1:205
	v_fma_f16 v61, v61, v62, v67
	v_pack_b32_f16 v37, v37, v39
	v_pack_b32_f16 v39, v66, v61
	ds_write2_b32 v36, v37, v39 offset0:82 offset1:251
	s_waitcnt lgkmcnt(1)
	v_lshrrev_b32_e32 v37, 16, v59
	s_waitcnt vmcnt(2)
	v_mul_f16_sdwa v39, v59, v63 dst_sel:DWORD dst_unused:UNUSED_PAD src0_sel:DWORD src1_sel:WORD_1
	v_fma_f16 v39, v37, v63, v39
	v_mul_f16_sdwa v37, v37, v63 dst_sel:DWORD dst_unused:UNUSED_PAD src0_sel:DWORD src1_sel:WORD_1
	v_fma_f16 v37, v59, v63, -v37
	v_lshrrev_b32_e32 v59, 16, v60
	ds_read_b32 v62, v40 offset:4056
	s_waitcnt vmcnt(1)
	v_mul_f16_sdwa v61, v59, v64 dst_sel:DWORD dst_unused:UNUSED_PAD src0_sel:DWORD src1_sel:WORD_1
	v_fma_f16 v61, v60, v64, -v61
	v_mul_f16_sdwa v60, v60, v64 dst_sel:DWORD dst_unused:UNUSED_PAD src0_sel:DWORD src1_sel:WORD_1
	v_fma_f16 v59, v59, v64, v60
	v_pack_b32_f16 v37, v37, v39
	v_pack_b32_f16 v39, v61, v59
	ds_write2_b32 v38, v37, v39 offset0:36 offset1:205
	s_waitcnt lgkmcnt(1)
	v_lshrrev_b32_e32 v37, 16, v62
	s_waitcnt vmcnt(0)
	v_mul_f16_sdwa v39, v37, v65 dst_sel:DWORD dst_unused:UNUSED_PAD src0_sel:DWORD src1_sel:WORD_1
	v_mul_f16_sdwa v59, v62, v65 dst_sel:DWORD dst_unused:UNUSED_PAD src0_sel:DWORD src1_sel:WORD_1
	v_fma_f16 v39, v62, v65, -v39
	v_fma_f16 v37, v37, v65, v59
	v_pack_b32_f16 v37, v39, v37
	ds_write_b32 v40, v37 offset:4056
	s_and_saveexec_b64 s[2:3], s[0:1]
	s_cbranch_execz .LBB0_9
; %bb.8:
	global_load_dword v37, v[34:35], off offset:364
	global_load_dword v39, v[34:35], off offset:1040
	;; [unrolled: 1-line block ×6, first 2 shown]
	v_add_co_u32_e32 v34, vcc, 0x1000, v34
	v_addc_co_u32_e32 v35, vcc, 0, v35, vcc
	global_load_dword v67, v[34:35], off offset:324
	v_add_u32_e32 v69, 0x600, v40
	v_add_u32_e32 v68, 0x100, v40
	ds_read_b32 v70, v40 offset:4420
	ds_read2_b32 v[34:35], v68 offset0:27 offset1:196
	v_add_u32_e32 v71, 0xb00, v40
	ds_read2_b32 v[59:60], v69 offset0:45 offset1:214
	ds_read2_b32 v[61:62], v71 offset0:63 offset1:232
	s_waitcnt lgkmcnt(3)
	v_lshrrev_b32_e32 v72, 16, v70
	s_waitcnt lgkmcnt(2)
	v_lshrrev_b32_e32 v73, 16, v34
	v_lshrrev_b32_e32 v74, 16, v35
	s_waitcnt lgkmcnt(1)
	v_lshrrev_b32_e32 v75, 16, v59
	;; [unrolled: 3-line block ×3, first 2 shown]
	v_lshrrev_b32_e32 v78, 16, v62
	s_waitcnt vmcnt(6)
	v_mul_f16_sdwa v79, v73, v37 dst_sel:DWORD dst_unused:UNUSED_PAD src0_sel:DWORD src1_sel:WORD_1
	v_mul_f16_sdwa v80, v34, v37 dst_sel:DWORD dst_unused:UNUSED_PAD src0_sel:DWORD src1_sel:WORD_1
	s_waitcnt vmcnt(5)
	v_mul_f16_sdwa v81, v74, v39 dst_sel:DWORD dst_unused:UNUSED_PAD src0_sel:DWORD src1_sel:WORD_1
	v_mul_f16_sdwa v82, v35, v39 dst_sel:DWORD dst_unused:UNUSED_PAD src0_sel:DWORD src1_sel:WORD_1
	;; [unrolled: 3-line block ×6, first 2 shown]
	v_fma_f16 v34, v34, v37, -v79
	v_fma_f16 v37, v73, v37, v80
	v_fma_f16 v35, v35, v39, -v81
	v_fma_f16 v39, v74, v39, v82
	;; [unrolled: 2-line block ×6, first 2 shown]
	v_pack_b32_f16 v34, v34, v37
	v_pack_b32_f16 v35, v35, v39
	;; [unrolled: 1-line block ×6, first 2 shown]
	s_waitcnt vmcnt(0)
	v_mul_f16_sdwa v61, v72, v67 dst_sel:DWORD dst_unused:UNUSED_PAD src0_sel:DWORD src1_sel:WORD_1
	v_mul_f16_sdwa v62, v70, v67 dst_sel:DWORD dst_unused:UNUSED_PAD src0_sel:DWORD src1_sel:WORD_1
	ds_write2_b32 v68, v34, v35 offset0:27 offset1:196
	ds_write2_b32 v69, v37, v39 offset0:45 offset1:214
	;; [unrolled: 1-line block ×3, first 2 shown]
	v_fma_f16 v34, v70, v67, -v61
	v_fma_f16 v35, v72, v67, v62
	v_pack_b32_f16 v34, v34, v35
	ds_write_b32 v40, v34 offset:4420
.LBB0_9:
	s_or_b64 exec, exec, s[2:3]
	s_waitcnt lgkmcnt(0)
	s_barrier
	ds_read2_b32 v[34:35], v40 offset1:169
	ds_read2_b32 v[36:37], v36 offset0:82 offset1:251
	ds_read2_b32 v[38:39], v38 offset0:36 offset1:205
	ds_read_b32 v59, v40 offset:4056
	s_and_saveexec_b64 s[2:3], s[0:1]
	s_cbranch_execz .LBB0_11
; %bb.10:
	v_lshl_add_u32 v27, v47, 2, v49
	v_add_u32_e32 v28, 0x400, v27
	v_add_u32_e32 v29, 0x800, v27
	;; [unrolled: 1-line block ×3, first 2 shown]
	ds_read_b32 v53, v40 offset:364
	ds_read2_b32 v[32:33], v28 offset0:4 offset1:173
	ds_read2_b32 v[30:31], v29 offset0:86 offset1:255
	;; [unrolled: 1-line block ×3, first 2 shown]
	s_waitcnt lgkmcnt(3)
	v_lshrrev_b32_e32 v54, 16, v53
	s_waitcnt lgkmcnt(2)
	v_lshrrev_b32_e32 v57, 16, v32
	v_lshrrev_b32_e32 v29, 16, v33
	s_waitcnt lgkmcnt(1)
	v_lshrrev_b32_e32 v56, 16, v30
	v_lshrrev_b32_e32 v55, 16, v31
	s_waitcnt lgkmcnt(0)
	v_lshrrev_b32_e32 v58, 16, v27
.LBB0_11:
	s_or_b64 exec, exec, s[2:3]
	s_waitcnt lgkmcnt(0)
	v_pk_add_f16 v60, v35, v59
	v_pk_add_f16 v35, v35, v59 neg_lo:[0,1] neg_hi:[0,1]
	v_pk_add_f16 v59, v36, v39
	v_pk_add_f16 v36, v36, v39 neg_lo:[0,1] neg_hi:[0,1]
	;; [unrolled: 2-line block ×3, first 2 shown]
	v_pk_add_f16 v38, v59, v60
	v_pk_add_f16 v38, v39, v38
	v_pk_add_f16 v61, v59, v60 neg_lo:[0,1] neg_hi:[0,1]
	v_pk_add_f16 v60, v60, v39 neg_lo:[0,1] neg_hi:[0,1]
	v_pk_add_f16 v62, v37, v36 op_sel:[1,1] op_sel_hi:[0,0]
	v_pk_add_f16 v63, v35, v37 op_sel:[1,1] op_sel_hi:[0,0] neg_lo:[0,1] neg_hi:[0,1]
	v_pk_add_f16 v64, v36, v35 op_sel:[1,1] op_sel_hi:[0,0] neg_lo:[0,1] neg_hi:[0,1]
	v_pk_add_f16 v34, v38, v34
	s_movk_i32 s2, 0x3a52
	s_movk_i32 s4, 0x39e0
	s_mov_b32 s13, 0xb574
	s_mov_b32 s5, 0xbb00
	;; [unrolled: 1-line block ×3, first 2 shown]
	s_barrier
	v_pk_add_f16 v35, v62, v35 op_sel:[0,1] op_sel_hi:[1,0]
	v_pk_mul_f16 v60, v60, s2 op_sel_hi:[1,0]
	v_pk_mul_f16 v62, v61, s4 op_sel_hi:[1,0]
	;; [unrolled: 1-line block ×4, first 2 shown]
	v_pk_fma_f16 v38, v38, s14, v34 op_sel_hi:[1,0,1]
	ds_write_b32 v51, v34
	v_pk_add_f16 v34, v39, v59 neg_lo:[0,1] neg_hi:[0,1]
	v_pk_add_f16 v36, v37, v36 op_sel:[1,1] op_sel_hi:[0,0] neg_lo:[0,1] neg_hi:[0,1]
	s_movk_i32 s15, 0x2b26
	s_movk_i32 s3, 0x3846
	v_pk_fma_f16 v61, v61, s4, v60 op_sel_hi:[1,0,1] neg_lo:[1,0,1] neg_hi:[1,0,1]
	v_pk_fma_f16 v63, v63, s13, v64 op_sel_hi:[1,0,1] neg_lo:[1,0,1] neg_hi:[1,0,1]
	s_mov_b32 s12, 0xb70e
	v_pk_fma_f16 v37, v34, s15, v62 op_sel_hi:[1,0,1] neg_lo:[1,0,0] neg_hi:[1,0,0]
	v_pk_fma_f16 v39, v36, s3, v64 op_sel_hi:[1,0,1] neg_lo:[1,0,0] neg_hi:[1,0,0]
	v_pk_fma_f16 v34, v34, s15, v60 op_sel_hi:[1,0,1]
	v_pk_fma_f16 v36, v36, s3, v65 op_sel_hi:[1,0,1]
	v_pk_add_f16 v61, v61, v38
	v_pk_fma_f16 v63, v35, s12, v63 op_sel_hi:[1,0,1]
	v_pk_add_f16 v37, v37, v38
	;; [unrolled: 2-line block ×4, first 2 shown]
	v_pk_add_f16 v61, v61, v63 neg_lo:[0,1] neg_hi:[0,1]
	s_mov_b32 s2, 0xffff
	v_pk_add_f16 v59, v37, v39 neg_lo:[0,1] neg_hi:[0,1]
	v_pk_add_f16 v37, v37, v39
	v_pk_add_f16 v36, v34, v35
	v_pk_add_f16 v34, v34, v35 neg_lo:[0,1] neg_hi:[0,1]
	v_bfi_b32 v63, s2, v66, v61
	v_bfi_b32 v39, s2, v59, v37
	;; [unrolled: 1-line block ×5, first 2 shown]
	ds_write2_b32 v51, v39, v37 offset0:3 offset1:4
	v_bfi_b32 v37, s2, v61, v66
	ds_write2_b32 v51, v34, v63 offset0:1 offset1:2
	ds_write2_b32 v51, v37, v35 offset0:5 offset1:6
	s_and_saveexec_b64 s[2:3], s[0:1]
	s_cbranch_execz .LBB0_13
; %bb.12:
	v_sub_f16_e32 v34, v32, v28
	v_sub_f16_e32 v35, v31, v30
	;; [unrolled: 1-line block ×3, first 2 shown]
	v_add_f16_sdwa v51, v28, v57 dst_sel:DWORD dst_unused:UNUSED_PAD src0_sel:WORD_1 src1_sel:DWORD
	v_add_f16_e32 v59, v56, v55
	v_add_f16_e32 v61, v58, v29
	;; [unrolled: 1-line block ×4, first 2 shown]
	v_sub_f16_e32 v55, v55, v56
	v_sub_f16_e32 v29, v29, v58
	;; [unrolled: 1-line block ×4, first 2 shown]
	v_add_f16_e32 v35, v35, v37
	v_add_f16_e32 v64, v61, v51
	;; [unrolled: 1-line block ×4, first 2 shown]
	v_sub_f16_sdwa v28, v57, v28 dst_sel:DWORD dst_unused:UNUSED_PAD src0_sel:DWORD src1_sel:WORD_1
	v_sub_f16_e32 v57, v55, v29
	v_mul_f16_e32 v38, 0x3846, v38
	v_add_f16_e32 v35, v35, v34
	v_sub_f16_e32 v60, v51, v59
	v_sub_f16_e32 v62, v59, v61
	v_add_f16_e32 v59, v59, v64
	v_sub_f16_e32 v31, v32, v30
	v_sub_f16_e32 v33, v30, v27
	v_add_f16_e32 v30, v30, v66
	v_sub_f16_e32 v56, v28, v55
	v_mul_f16_e32 v57, 0x3846, v57
	v_add_f16_e32 v55, v55, v29
	v_sub_f16_e32 v34, v37, v34
	v_fma_f16 v39, v36, s13, v38
	v_add_f16_e32 v54, v54, v59
	v_add_f16_e32 v53, v53, v30
	v_fma_f16 v58, v56, s13, v57
	v_add_f16_e32 v55, v55, v28
	v_mul_f16_e32 v37, 0xbb00, v34
	s_movk_i32 s13, 0x3574
	v_sub_f16_e32 v28, v29, v28
	v_mul_f16_e32 v60, 0x3a52, v60
	v_mul_f16_e32 v63, 0x2b26, v62
	v_fma_f16 v59, v59, s14, v54
	v_mul_f16_e32 v31, 0x3a52, v31
	v_mul_f16_e32 v65, 0x2b26, v33
	v_fma_f16 v30, v30, s14, v53
	v_fma_f16 v36, v36, s13, -v37
	v_sub_f16_e32 v37, v61, v51
	s_mov_b32 s14, 0xb9e0
	v_sub_f16_e32 v27, v27, v32
	v_mul_f16_e32 v29, 0xbb00, v28
	v_fma_f16 v33, v33, s15, v31
	v_fma_f16 v51, v37, s14, -v60
	v_fma_f16 v31, v27, s14, -v31
	;; [unrolled: 1-line block ×7, first 2 shown]
	v_fma_f16 v36, v35, s12, v36
	v_add_f16_e32 v51, v51, v59
	v_add_f16_e32 v31, v31, v30
	v_fma_f16 v29, v55, s12, v29
	v_add_f16_e32 v37, v37, v59
	v_fma_f16 v34, v35, s12, v34
	v_fma_f16 v28, v55, s12, v28
	v_add_f16_e32 v27, v27, v30
	v_fma_f16 v39, v35, s12, v39
	v_fma_f16 v62, v62, s15, v60
	v_add_f16_e32 v33, v33, v30
	v_sub_f16_e32 v32, v31, v29
	v_sub_f16_e32 v35, v37, v34
	v_add_f16_e32 v30, v28, v27
	v_add_f16_e32 v34, v34, v37
	v_sub_f16_e32 v27, v27, v28
	v_sub_f16_e32 v28, v51, v36
	v_add_f16_e32 v29, v29, v31
	v_add_f16_e32 v62, v62, v59
	v_fma_f16 v58, v55, s12, v58
	v_add_f16_e32 v60, v36, v51
	v_lshl_add_u32 v36, v50, 2, v49
	v_pack_b32_f16 v27, v27, v34
	v_pack_b32_f16 v28, v29, v28
	v_add_f16_e32 v64, v39, v62
	v_sub_f16_e32 v66, v33, v58
	v_sub_f16_e32 v31, v62, v39
	v_add_f16_e32 v33, v33, v58
	ds_write2_b32 v36, v28, v27 offset0:2 offset1:3
	v_pack_b32_f16 v27, v32, v60
	v_pack_b32_f16 v28, v30, v35
	;; [unrolled: 1-line block ×4, first 2 shown]
	ds_write2_b32 v36, v28, v27 offset0:4 offset1:5
	v_pack_b32_f16 v27, v66, v64
	ds_write2_b32 v36, v33, v31 offset1:1
	ds_write_b32 v36, v27 offset:24
.LBB0_13:
	s_or_b64 exec, exec, s[2:3]
	s_waitcnt lgkmcnt(0)
	s_barrier
	ds_read2_b32 v[32:33], v40 offset1:91
	v_add_u32_e32 v29, 0x200, v40
	ds_read2_b32 v[34:35], v29 offset0:54 offset1:145
	v_add_u32_e32 v28, 0x400, v40
	ds_read2_b32 v[36:37], v28 offset0:108 offset1:199
	s_waitcnt lgkmcnt(2)
	v_lshrrev_b32_e32 v51, 16, v33
	v_mul_f16_sdwa v67, v0, v51 dst_sel:DWORD dst_unused:UNUSED_PAD src0_sel:WORD_1 src1_sel:DWORD
	s_waitcnt lgkmcnt(1)
	v_lshrrev_b32_e32 v55, 16, v34
	v_fma_f16 v67, v0, v33, v67
	v_mul_f16_sdwa v33, v0, v33 dst_sel:DWORD dst_unused:UNUSED_PAD src0_sel:WORD_1 src1_sel:DWORD
	v_fma_f16 v0, v0, v51, -v33
	v_mul_f16_sdwa v33, v1, v55 dst_sel:DWORD dst_unused:UNUSED_PAD src0_sel:WORD_1 src1_sel:DWORD
	v_add_u32_e32 v30, 0x800, v40
	v_lshrrev_b32_e32 v56, 16, v35
	v_fma_f16 v33, v1, v34, v33
	v_mul_f16_sdwa v34, v1, v34 dst_sel:DWORD dst_unused:UNUSED_PAD src0_sel:WORD_1 src1_sel:DWORD
	ds_read2_b32 v[38:39], v30 offset0:34 offset1:125
	v_fma_f16 v1, v1, v55, -v34
	v_mul_f16_sdwa v34, v2, v56 dst_sel:DWORD dst_unused:UNUSED_PAD src0_sel:WORD_1 src1_sel:DWORD
	s_waitcnt lgkmcnt(1)
	v_lshrrev_b32_e32 v57, 16, v36
	v_fma_f16 v34, v2, v35, v34
	v_mul_f16_sdwa v35, v2, v35 dst_sel:DWORD dst_unused:UNUSED_PAD src0_sel:WORD_1 src1_sel:DWORD
	v_fma_f16 v2, v2, v56, -v35
	v_mul_f16_sdwa v35, v3, v57 dst_sel:DWORD dst_unused:UNUSED_PAD src0_sel:WORD_1 src1_sel:DWORD
	v_lshrrev_b32_e32 v58, 16, v37
	v_add_u32_e32 v27, 0xa00, v40
	v_fma_f16 v35, v3, v36, v35
	v_mul_f16_sdwa v36, v3, v36 dst_sel:DWORD dst_unused:UNUSED_PAD src0_sel:WORD_1 src1_sel:DWORD
	ds_read2_b32 v[49:50], v27 offset0:88 offset1:179
	v_fma_f16 v3, v3, v57, -v36
	v_mul_f16_sdwa v36, v8, v58 dst_sel:DWORD dst_unused:UNUSED_PAD src0_sel:WORD_1 src1_sel:DWORD
	s_waitcnt lgkmcnt(1)
	v_lshrrev_b32_e32 v59, 16, v38
	v_fma_f16 v36, v8, v37, v36
	v_mul_f16_sdwa v37, v8, v37 dst_sel:DWORD dst_unused:UNUSED_PAD src0_sel:WORD_1 src1_sel:DWORD
	v_fma_f16 v8, v8, v58, -v37
	v_mul_f16_sdwa v37, v9, v59 dst_sel:DWORD dst_unused:UNUSED_PAD src0_sel:WORD_1 src1_sel:DWORD
	v_add_u32_e32 v31, 0xc00, v40
	v_lshrrev_b32_e32 v60, 16, v39
	v_fma_f16 v37, v9, v38, v37
	v_mul_f16_sdwa v38, v9, v38 dst_sel:DWORD dst_unused:UNUSED_PAD src0_sel:WORD_1 src1_sel:DWORD
	ds_read2_b32 v[53:54], v31 offset0:142 offset1:233
	v_fma_f16 v9, v9, v59, -v38
	v_mul_f16_sdwa v38, v10, v60 dst_sel:DWORD dst_unused:UNUSED_PAD src0_sel:WORD_1 src1_sel:DWORD
	s_waitcnt lgkmcnt(1)
	v_lshrrev_b32_e32 v62, 16, v49
	v_fma_f16 v38, v10, v39, v38
	v_mul_f16_sdwa v39, v10, v39 dst_sel:DWORD dst_unused:UNUSED_PAD src0_sel:WORD_1 src1_sel:DWORD
	ds_read_b32 v61, v40 offset:4368
	v_fma_f16 v10, v10, v60, -v39
	v_mul_f16_sdwa v39, v11, v62 dst_sel:DWORD dst_unused:UNUSED_PAD src0_sel:WORD_1 src1_sel:DWORD
	v_lshrrev_b32_e32 v63, 16, v50
	v_fma_f16 v39, v11, v49, v39
	v_mul_f16_sdwa v49, v11, v49 dst_sel:DWORD dst_unused:UNUSED_PAD src0_sel:WORD_1 src1_sel:DWORD
	v_fma_f16 v11, v11, v62, -v49
	v_mul_f16_sdwa v49, v4, v63 dst_sel:DWORD dst_unused:UNUSED_PAD src0_sel:WORD_1 src1_sel:DWORD
	s_waitcnt lgkmcnt(1)
	v_lshrrev_b32_e32 v64, 16, v53
	v_fma_f16 v49, v4, v50, v49
	v_mul_f16_sdwa v50, v4, v50 dst_sel:DWORD dst_unused:UNUSED_PAD src0_sel:WORD_1 src1_sel:DWORD
	v_lshrrev_b32_e32 v65, 16, v54
	v_fma_f16 v4, v4, v63, -v50
	v_mul_f16_sdwa v50, v5, v64 dst_sel:DWORD dst_unused:UNUSED_PAD src0_sel:WORD_1 src1_sel:DWORD
	v_mul_f16_sdwa v51, v5, v53 dst_sel:DWORD dst_unused:UNUSED_PAD src0_sel:WORD_1 src1_sel:DWORD
	s_waitcnt lgkmcnt(0)
	v_lshrrev_b32_e32 v66, 16, v61
	v_fma_f16 v50, v5, v53, v50
	v_fma_f16 v5, v5, v64, -v51
	v_mul_f16_sdwa v51, v6, v65 dst_sel:DWORD dst_unused:UNUSED_PAD src0_sel:WORD_1 src1_sel:DWORD
	v_mul_f16_sdwa v53, v6, v54 dst_sel:DWORD dst_unused:UNUSED_PAD src0_sel:WORD_1 src1_sel:DWORD
	v_fma_f16 v51, v6, v54, v51
	v_fma_f16 v6, v6, v65, -v53
	v_mul_f16_sdwa v53, v7, v66 dst_sel:DWORD dst_unused:UNUSED_PAD src0_sel:WORD_1 src1_sel:DWORD
	v_mul_f16_sdwa v54, v7, v61 dst_sel:DWORD dst_unused:UNUSED_PAD src0_sel:WORD_1 src1_sel:DWORD
	v_fma_f16 v53, v7, v61, v53
	v_fma_f16 v7, v7, v66, -v54
	v_add_f16_e32 v54, v67, v32
	v_add_f16_sdwa v55, v0, v32 dst_sel:DWORD dst_unused:UNUSED_PAD src0_sel:DWORD src1_sel:WORD_1
	v_add_f16_e32 v54, v54, v33
	v_add_f16_e32 v55, v55, v1
	;; [unrolled: 1-line block ×21, first 2 shown]
	v_add_f16_sdwa v55, v55, v7 dst_sel:WORD_1 dst_unused:UNUSED_PAD src0_sel:DWORD src1_sel:DWORD
	v_add_f16_e32 v56, v0, v7
	v_sub_f16_e32 v0, v0, v7
	v_or_b32_e32 v54, v55, v54
	v_add_f16_e32 v55, v67, v53
	v_sub_f16_e32 v53, v67, v53
	s_mov_b32 s14, 0xb770
	v_mul_f16_e32 v7, 0xb770, v0
	s_movk_i32 s15, 0x3b15
	v_mul_f16_e32 v58, 0x3b15, v56
	s_movk_i32 s16, 0x3770
	s_mov_b32 s5, 0xba95
	v_mul_f16_e32 v60, 0xba95, v0
	s_movk_i32 s12, 0x388b
	v_mul_f16_e32 v62, 0x388b, v56
	s_movk_i32 s13, 0x3a95
	;; [unrolled: 5-line block ×3, first 2 shown]
	s_mov_b32 s17, 0xbb7b
	v_mul_f16_e32 v68, 0xbb7b, v0
	s_mov_b32 s18, 0xb5ac
	v_mul_f16_e32 v70, 0xb5ac, v56
	s_movk_i32 s19, 0x3b7b
	s_mov_b32 s20, 0xb94e
	v_mul_f16_e32 v72, 0xb94e, v0
	s_mov_b32 s21, 0xb9fd
	v_mul_f16_e32 v74, 0xb9fd, v56
	s_movk_i32 s22, 0x394e
	;; [unrolled: 5-line block ×3, first 2 shown]
	v_fma_f16 v57, v55, s15, v7
	v_fma_f16 v59, v53, s16, v58
	v_fma_f16 v7, v55, s15, -v7
	v_fma_f16 v58, v53, s14, v58
	v_fma_f16 v61, v55, s12, v60
	v_fma_f16 v63, v53, s13, v62
	v_fma_f16 v60, v55, s12, -v60
	v_fma_f16 v62, v53, s5, v62
	;; [unrolled: 4-line block ×6, first 2 shown]
	v_add_f16_e32 v55, v1, v6
	v_sub_f16_e32 v1, v1, v6
	v_add_f16_e32 v57, v57, v32
	v_add_f16_sdwa v59, v59, v32 dst_sel:DWORD dst_unused:UNUSED_PAD src0_sel:DWORD src1_sel:WORD_1
	v_add_f16_e32 v7, v7, v32
	v_add_f16_sdwa v58, v58, v32 dst_sel:DWORD dst_unused:UNUSED_PAD src0_sel:DWORD src1_sel:WORD_1
	;; [unrolled: 2-line block ×12, first 2 shown]
	v_add_f16_e32 v53, v33, v51
	v_mul_f16_e32 v6, 0xba95, v1
	v_sub_f16_e32 v33, v33, v51
	v_fma_f16 v51, v53, s12, v6
	v_mul_f16_e32 v56, 0x388b, v55
	v_fma_f16 v6, v53, s12, -v6
	v_add_f16_e32 v51, v51, v57
	v_fma_f16 v57, v33, s13, v56
	v_add_f16_e32 v6, v6, v7
	v_fma_f16 v7, v33, s5, v56
	v_mul_f16_e32 v56, 0xbb7b, v1
	v_add_f16_e32 v57, v57, v59
	v_add_f16_e32 v7, v7, v58
	v_fma_f16 v58, v53, s18, v56
	v_mul_f16_e32 v59, 0xb5ac, v55
	v_fma_f16 v56, v53, s18, -v56
	v_add_f16_e32 v58, v58, v61
	v_fma_f16 v61, v33, s19, v59
	v_add_f16_e32 v56, v56, v60
	v_fma_f16 v59, v33, s17, v59
	v_mul_f16_e32 v60, 0xb3a8, v1
	v_add_f16_e32 v61, v61, v63
	v_add_f16_e32 v59, v59, v62
	;; [unrolled: 10-line block ×4, first 2 shown]
	v_fma_f16 v70, v53, s3, v68
	v_mul_f16_e32 v71, 0x2fb7, v55
	v_fma_f16 v68, v53, s3, -v68
	v_mul_f16_e32 v1, 0x3770, v1
	v_add_f16_e32 v70, v70, v73
	v_fma_f16 v73, v33, s2, v71
	v_add_f16_e32 v68, v68, v72
	v_fma_f16 v71, v33, s4, v71
	v_fma_f16 v72, v53, s15, v1
	v_mul_f16_e32 v55, 0x3b15, v55
	v_fma_f16 v1, v53, s15, -v1
	v_add_f16_e32 v71, v71, v74
	v_fma_f16 v74, v33, s14, v55
	v_add_f16_e32 v0, v1, v0
	v_fma_f16 v1, v33, s16, v55
	v_add_f16_e32 v33, v2, v5
	v_sub_f16_e32 v2, v2, v5
	v_add_f16_e32 v1, v1, v32
	v_add_f16_e32 v32, v34, v50
	v_mul_f16_e32 v5, 0xbbf1, v2
	v_sub_f16_e32 v34, v34, v50
	v_fma_f16 v50, v32, s3, v5
	v_add_f16_e32 v50, v50, v51
	v_mul_f16_e32 v51, 0x2fb7, v33
	v_fma_f16 v5, v32, s3, -v5
	v_add_f16_e32 v5, v5, v6
	v_fma_f16 v6, v34, s2, v51
	v_add_f16_e32 v6, v6, v7
	v_mul_f16_e32 v7, 0xb3a8, v2
	v_fma_f16 v53, v34, s4, v51
	v_fma_f16 v51, v32, s24, v7
	v_fma_f16 v7, v32, s24, -v7
	v_mul_f16_e32 v55, 0xbbc4, v33
	v_add_f16_e32 v7, v7, v56
	v_mul_f16_e32 v56, 0x3b7b, v2
	v_add_f16_e32 v53, v53, v57
	v_add_f16_e32 v51, v51, v58
	v_fma_f16 v57, v34, s25, v55
	v_fma_f16 v55, v34, s23, v55
	;; [unrolled: 1-line block ×3, first 2 shown]
	v_fma_f16 v56, v32, s18, -v56
	v_add_f16_e32 v55, v55, v59
	v_mul_f16_e32 v59, 0xb5ac, v33
	v_add_f16_e32 v56, v56, v60
	v_mul_f16_e32 v60, 0x3770, v2
	v_add_f16_e32 v57, v57, v61
	v_add_f16_e32 v58, v58, v62
	v_fma_f16 v61, v34, s17, v59
	v_fma_f16 v59, v34, s19, v59
	;; [unrolled: 1-line block ×3, first 2 shown]
	v_fma_f16 v60, v32, s15, -v60
	v_add_f16_e32 v59, v59, v63
	v_mul_f16_e32 v63, 0x3b15, v33
	v_add_f16_e32 v60, v60, v64
	v_mul_f16_e32 v64, 0xba95, v2
	v_add_f16_e32 v61, v61, v65
	v_add_f16_e32 v62, v62, v66
	v_fma_f16 v65, v34, s14, v63
	v_fma_f16 v63, v34, s16, v63
	;; [unrolled: 1-line block ×3, first 2 shown]
	v_fma_f16 v64, v32, s12, -v64
	v_mul_f16_e32 v2, 0xb94e, v2
	v_add_f16_e32 v63, v63, v67
	v_mul_f16_e32 v67, 0x388b, v33
	v_add_f16_e32 v64, v64, v68
	v_fma_f16 v68, v32, s21, v2
	v_mul_f16_e32 v33, 0xb9fd, v33
	v_fma_f16 v2, v32, s21, -v2
	v_add_f16_e32 v0, v2, v0
	v_fma_f16 v2, v34, s20, v33
	v_add_f16_e32 v32, v3, v4
	v_sub_f16_e32 v3, v3, v4
	v_add_f16_e32 v1, v2, v1
	v_add_f16_e32 v2, v35, v49
	v_mul_f16_e32 v4, 0xbb7b, v3
	v_add_f16_e32 v65, v65, v69
	v_add_f16_e32 v66, v66, v70
	v_fma_f16 v69, v34, s13, v67
	v_fma_f16 v67, v34, s5, v67
	;; [unrolled: 1-line block ×3, first 2 shown]
	v_sub_f16_e32 v33, v35, v49
	v_fma_f16 v34, v2, s18, v4
	v_mul_f16_e32 v35, 0xb5ac, v32
	v_fma_f16 v4, v2, s18, -v4
	v_add_f16_e32 v4, v4, v5
	v_fma_f16 v5, v33, s17, v35
	v_add_f16_e32 v5, v5, v6
	v_mul_f16_e32 v6, 0x394e, v3
	v_add_f16_e32 v34, v34, v50
	v_fma_f16 v49, v33, s19, v35
	v_fma_f16 v35, v2, s21, v6
	v_mul_f16_e32 v50, 0xb9fd, v32
	v_fma_f16 v6, v2, s21, -v6
	v_add_f16_e32 v35, v35, v51
	v_fma_f16 v51, v33, s20, v50
	v_add_f16_e32 v6, v6, v7
	v_fma_f16 v7, v33, s22, v50
	v_mul_f16_e32 v50, 0x3770, v3
	v_add_f16_e32 v49, v49, v53
	v_fma_f16 v53, v2, s15, v50
	v_fma_f16 v50, v2, s15, -v50
	v_add_f16_e32 v7, v7, v55
	v_mul_f16_e32 v55, 0x3b15, v32
	v_add_f16_e32 v50, v50, v56
	v_mul_f16_e32 v56, 0xbbf1, v3
	v_add_f16_e32 v51, v51, v57
	v_add_f16_e32 v53, v53, v58
	v_fma_f16 v57, v33, s14, v55
	v_fma_f16 v55, v33, s16, v55
	;; [unrolled: 1-line block ×3, first 2 shown]
	v_fma_f16 v56, v2, s3, -v56
	v_add_f16_e32 v55, v55, v59
	v_mul_f16_e32 v59, 0x2fb7, v32
	v_add_f16_e32 v56, v56, v60
	v_mul_f16_e32 v60, 0x33a8, v3
	v_add_f16_e32 v57, v57, v61
	v_add_f16_e32 v58, v58, v62
	v_fma_f16 v61, v33, s4, v59
	v_fma_f16 v59, v33, s2, v59
	v_fma_f16 v62, v2, s24, v60
	v_fma_f16 v60, v2, s24, -v60
	v_mul_f16_e32 v3, 0x3a95, v3
	v_add_f16_e32 v59, v59, v63
	v_mul_f16_e32 v63, 0xbbc4, v32
	v_add_f16_e32 v60, v60, v64
	v_fma_f16 v64, v2, s12, v3
	v_mul_f16_e32 v32, 0x388b, v32
	v_fma_f16 v2, v2, s12, -v3
	v_add_f16_e32 v0, v2, v0
	v_fma_f16 v2, v33, s13, v32
	v_add_f16_e32 v3, v8, v11
	v_sub_f16_e32 v8, v8, v11
	v_add_f16_e32 v1, v2, v1
	v_add_f16_e32 v2, v36, v39
	v_mul_f16_e32 v11, 0xb94e, v8
	v_add_f16_e32 v61, v61, v65
	v_add_f16_e32 v62, v62, v66
	v_fma_f16 v65, v33, s23, v63
	v_fma_f16 v63, v33, s25, v63
	;; [unrolled: 1-line block ×4, first 2 shown]
	v_sub_f16_e32 v32, v36, v39
	v_add_f16_e32 v33, v33, v34
	v_mul_f16_e32 v34, 0xb9fd, v3
	v_fma_f16 v11, v2, s21, -v11
	v_add_f16_e32 v4, v11, v4
	v_fma_f16 v11, v32, s20, v34
	v_add_f16_e32 v5, v11, v5
	v_mul_f16_e32 v11, 0x3bf1, v8
	v_fma_f16 v36, v32, s22, v34
	v_fma_f16 v34, v2, s3, v11
	v_add_f16_e32 v34, v34, v35
	v_mul_f16_e32 v35, 0x2fb7, v3
	v_fma_f16 v11, v2, s3, -v11
	v_add_f16_e32 v6, v11, v6
	v_fma_f16 v11, v32, s4, v35
	v_add_f16_e32 v7, v11, v7
	v_mul_f16_e32 v11, 0xba95, v8
	v_fma_f16 v39, v32, s2, v35
	v_fma_f16 v35, v2, s12, v11
	v_fma_f16 v11, v2, s12, -v11
	v_add_f16_e32 v36, v36, v49
	v_mul_f16_e32 v49, 0x388b, v3
	v_add_f16_e32 v11, v11, v50
	v_mul_f16_e32 v50, 0x33a8, v8
	v_add_f16_e32 v39, v39, v51
	v_add_f16_e32 v35, v35, v53
	v_fma_f16 v51, v32, s13, v49
	v_fma_f16 v49, v32, s5, v49
	;; [unrolled: 1-line block ×3, first 2 shown]
	v_fma_f16 v50, v2, s24, -v50
	v_add_f16_e32 v49, v49, v55
	v_mul_f16_e32 v55, 0xbbc4, v3
	v_add_f16_e32 v50, v50, v56
	v_mul_f16_e32 v56, 0x3770, v8
	v_add_f16_e32 v51, v51, v57
	v_add_f16_e32 v53, v53, v58
	v_fma_f16 v57, v32, s23, v55
	v_fma_f16 v55, v32, s25, v55
	;; [unrolled: 1-line block ×3, first 2 shown]
	v_fma_f16 v56, v2, s15, -v56
	v_mul_f16_e32 v8, 0xbb7b, v8
	v_add_f16_e32 v55, v55, v59
	v_mul_f16_e32 v59, 0x3b15, v3
	v_add_f16_e32 v56, v56, v60
	v_fma_f16 v60, v2, s18, v8
	v_mul_f16_e32 v3, 0xb5ac, v3
	v_fma_f16 v2, v2, s18, -v8
	v_add_f16_e32 v58, v58, v62
	v_fma_f16 v62, v32, s19, v3
	v_add_f16_e32 v0, v2, v0
	v_fma_f16 v2, v32, s17, v3
	v_add_f16_e32 v3, v9, v10
	v_sub_f16_e32 v9, v9, v10
	v_add_f16_e32 v1, v2, v1
	v_add_f16_e32 v2, v37, v38
	v_mul_f16_e32 v10, 0xb3a8, v9
	v_add_f16_e32 v57, v57, v61
	v_fma_f16 v61, v32, s14, v59
	v_fma_f16 v59, v32, s16, v59
	;; [unrolled: 1-line block ×3, first 2 shown]
	v_sub_f16_e32 v8, v37, v38
	v_add_f16_e32 v32, v32, v33
	v_mul_f16_e32 v33, 0xbbc4, v3
	v_fma_f16 v10, v2, s24, -v10
	v_add_f16_e32 v4, v10, v4
	v_fma_f16 v10, v8, s23, v33
	v_add_f16_e32 v5, v10, v5
	v_mul_f16_e32 v10, 0x3770, v9
	v_fma_f16 v37, v8, s25, v33
	v_fma_f16 v33, v2, s15, v10
	v_add_f16_e32 v33, v33, v34
	v_mul_f16_e32 v34, 0x3b15, v3
	v_fma_f16 v10, v2, s15, -v10
	v_add_f16_e32 v6, v10, v6
	v_fma_f16 v10, v8, s16, v34
	v_add_f16_e32 v7, v10, v7
	v_mul_f16_e32 v10, 0xb94e, v9
	v_add_f16_e32 v36, v37, v36
	v_fma_f16 v37, v8, s14, v34
	v_fma_f16 v34, v2, s21, v10
	v_add_f16_e32 v34, v34, v35
	v_mul_f16_e32 v35, 0xb9fd, v3
	v_fma_f16 v10, v2, s21, -v10
	v_fma_f16 v38, v8, s22, v35
	v_add_f16_e32 v10, v10, v11
	v_fma_f16 v11, v8, s20, v35
	v_mul_f16_e32 v35, 0x3a95, v9
	v_add_f16_e32 v37, v37, v39
	v_fma_f16 v39, v2, s12, v35
	v_fma_f16 v35, v2, s12, -v35
	v_add_f16_e32 v11, v11, v49
	v_mul_f16_e32 v49, 0x388b, v3
	v_add_f16_e32 v35, v35, v50
	v_mul_f16_e32 v50, 0xbb7b, v9
	v_add_f16_e32 v73, v73, v75
	v_add_f16_e32 v38, v38, v51
	;; [unrolled: 1-line block ×3, first 2 shown]
	v_fma_f16 v51, v8, s5, v49
	v_fma_f16 v49, v8, s13, v49
	;; [unrolled: 1-line block ×3, first 2 shown]
	v_fma_f16 v50, v2, s18, -v50
	v_mul_f16_e32 v9, 0x3bf1, v9
	v_add_f16_e32 v72, v72, v76
	v_add_f16_e32 v74, v74, v77
	;; [unrolled: 1-line block ×4, first 2 shown]
	v_mul_f16_e32 v55, 0xb5ac, v3
	v_add_f16_e32 v50, v50, v56
	v_fma_f16 v56, v2, s3, v9
	v_mul_f16_e32 v3, 0x2fb7, v3
	v_fma_f16 v2, v2, s3, -v9
	v_add_f16_e32 v68, v68, v72
	v_add_f16_e32 v70, v70, v74
	;; [unrolled: 1-line block ×4, first 2 shown]
	v_fma_f16 v2, v8, s4, v3
	v_add_f16_e32 v67, v67, v71
	v_add_f16_e32 v64, v64, v68
	;; [unrolled: 1-line block ×5, first 2 shown]
	v_fma_f16 v57, v8, s19, v55
	v_add_f16_e32 v1, v2, v1
	v_pack_b32_f16 v2, v32, v36
	v_add_f16_e32 v63, v63, v67
	v_add_f16_e32 v60, v60, v64
	;; [unrolled: 1-line block ×5, first 2 shown]
	v_fma_f16 v58, v8, s2, v3
	s_barrier
	ds_write2_b32 v52, v54, v2 offset1:7
	v_pack_b32_f16 v2, v33, v37
	v_pack_b32_f16 v3, v34, v38
	v_add_f16_e32 v59, v59, v63
	v_fma_f16 v55, v8, s17, v55
	v_add_f16_e32 v56, v56, v60
	v_add_f16_e32 v58, v58, v62
	ds_write2_b32 v52, v2, v3 offset0:14 offset1:21
	v_pack_b32_f16 v2, v39, v51
	v_pack_b32_f16 v3, v53, v57
	v_add_f16_e32 v55, v55, v59
	ds_write2_b32 v52, v2, v3 offset0:28 offset1:35
	v_pack_b32_f16 v2, v56, v58
	v_pack_b32_f16 v0, v0, v1
	ds_write2_b32 v52, v2, v0 offset0:42 offset1:49
	v_pack_b32_f16 v0, v50, v55
	v_pack_b32_f16 v1, v35, v49
	;; [unrolled: 3-line block ×3, first 2 shown]
	ds_write2_b32 v52, v0, v1 offset0:70 offset1:77
	v_pack_b32_f16 v0, v4, v5
	ds_write_b32 v52, v0 offset:336
	s_waitcnt lgkmcnt(0)
	s_barrier
	ds_read2_b32 v[0:1], v40 offset1:91
	ds_read2_b32 v[2:3], v29 offset0:54 offset1:145
	ds_read2_b32 v[4:5], v28 offset0:108 offset1:199
	;; [unrolled: 1-line block ×4, first 2 shown]
	s_waitcnt lgkmcnt(4)
	v_lshrrev_b32_e32 v32, 16, v1
	v_mul_f16_sdwa v54, v12, v32 dst_sel:DWORD dst_unused:UNUSED_PAD src0_sel:WORD_1 src1_sel:DWORD
	s_waitcnt lgkmcnt(3)
	v_lshrrev_b32_e32 v33, 16, v2
	v_fma_f16 v54, v12, v1, v54
	v_mul_f16_sdwa v1, v12, v1 dst_sel:DWORD dst_unused:UNUSED_PAD src0_sel:WORD_1 src1_sel:DWORD
	v_fma_f16 v1, v12, v32, -v1
	v_mul_f16_sdwa v12, v13, v33 dst_sel:DWORD dst_unused:UNUSED_PAD src0_sel:WORD_1 src1_sel:DWORD
	v_lshrrev_b32_e32 v34, 16, v3
	v_fma_f16 v12, v13, v2, v12
	v_mul_f16_sdwa v2, v13, v2 dst_sel:DWORD dst_unused:UNUSED_PAD src0_sel:WORD_1 src1_sel:DWORD
	v_fma_f16 v2, v13, v33, -v2
	v_mul_f16_sdwa v13, v14, v34 dst_sel:DWORD dst_unused:UNUSED_PAD src0_sel:WORD_1 src1_sel:DWORD
	s_waitcnt lgkmcnt(2)
	v_lshrrev_b32_e32 v35, 16, v4
	v_fma_f16 v13, v14, v3, v13
	v_mul_f16_sdwa v3, v14, v3 dst_sel:DWORD dst_unused:UNUSED_PAD src0_sel:WORD_1 src1_sel:DWORD
	v_fma_f16 v3, v14, v34, -v3
	v_mul_f16_sdwa v14, v15, v35 dst_sel:DWORD dst_unused:UNUSED_PAD src0_sel:WORD_1 src1_sel:DWORD
	v_lshrrev_b32_e32 v36, 16, v5
	v_fma_f16 v14, v15, v4, v14
	v_mul_f16_sdwa v4, v15, v4 dst_sel:DWORD dst_unused:UNUSED_PAD src0_sel:WORD_1 src1_sel:DWORD
	v_fma_f16 v4, v15, v35, -v4
	v_mul_f16_sdwa v15, v16, v36 dst_sel:DWORD dst_unused:UNUSED_PAD src0_sel:WORD_1 src1_sel:DWORD
	s_waitcnt lgkmcnt(1)
	v_lshrrev_b32_e32 v37, 16, v6
	v_fma_f16 v15, v16, v5, v15
	v_mul_f16_sdwa v5, v16, v5 dst_sel:DWORD dst_unused:UNUSED_PAD src0_sel:WORD_1 src1_sel:DWORD
	v_fma_f16 v5, v16, v36, -v5
	v_mul_f16_sdwa v16, v17, v37 dst_sel:DWORD dst_unused:UNUSED_PAD src0_sel:WORD_1 src1_sel:DWORD
	v_lshrrev_b32_e32 v38, 16, v7
	v_fma_f16 v16, v17, v6, v16
	v_mul_f16_sdwa v6, v17, v6 dst_sel:DWORD dst_unused:UNUSED_PAD src0_sel:WORD_1 src1_sel:DWORD
	ds_read2_b32 v[10:11], v31 offset0:142 offset1:233
	v_fma_f16 v6, v17, v37, -v6
	v_mul_f16_sdwa v17, v18, v38 dst_sel:DWORD dst_unused:UNUSED_PAD src0_sel:WORD_1 src1_sel:DWORD
	s_waitcnt lgkmcnt(1)
	v_lshrrev_b32_e32 v49, 16, v8
	v_fma_f16 v17, v18, v7, v17
	v_mul_f16_sdwa v7, v18, v7 dst_sel:DWORD dst_unused:UNUSED_PAD src0_sel:WORD_1 src1_sel:DWORD
	v_fma_f16 v7, v18, v38, -v7
	v_mul_f16_sdwa v18, v19, v49 dst_sel:DWORD dst_unused:UNUSED_PAD src0_sel:WORD_1 src1_sel:DWORD
	v_lshrrev_b32_e32 v50, 16, v9
	v_fma_f16 v18, v19, v8, v18
	v_mul_f16_sdwa v8, v19, v8 dst_sel:DWORD dst_unused:UNUSED_PAD src0_sel:WORD_1 src1_sel:DWORD
	ds_read_b32 v39, v40 offset:4368
	v_fma_f16 v8, v19, v49, -v8
	v_mul_f16_sdwa v19, v20, v50 dst_sel:DWORD dst_unused:UNUSED_PAD src0_sel:WORD_1 src1_sel:DWORD
	s_waitcnt lgkmcnt(1)
	v_lshrrev_b32_e32 v51, 16, v10
	v_fma_f16 v19, v20, v9, v19
	v_mul_f16_sdwa v9, v20, v9 dst_sel:DWORD dst_unused:UNUSED_PAD src0_sel:WORD_1 src1_sel:DWORD
	v_fma_f16 v9, v20, v50, -v9
	v_mul_f16_sdwa v20, v21, v51 dst_sel:DWORD dst_unused:UNUSED_PAD src0_sel:WORD_1 src1_sel:DWORD
	v_lshrrev_b32_e32 v52, 16, v11
	v_fma_f16 v20, v21, v10, v20
	v_mul_f16_sdwa v10, v21, v10 dst_sel:DWORD dst_unused:UNUSED_PAD src0_sel:WORD_1 src1_sel:DWORD
	v_fma_f16 v10, v21, v51, -v10
	v_mul_f16_sdwa v21, v22, v52 dst_sel:DWORD dst_unused:UNUSED_PAD src0_sel:WORD_1 src1_sel:DWORD
	s_waitcnt lgkmcnt(0)
	v_lshrrev_b32_e32 v53, 16, v39
	v_fma_f16 v21, v22, v11, v21
	v_mul_f16_sdwa v11, v22, v11 dst_sel:DWORD dst_unused:UNUSED_PAD src0_sel:WORD_1 src1_sel:DWORD
	v_fma_f16 v11, v22, v52, -v11
	v_mul_f16_sdwa v22, v23, v53 dst_sel:DWORD dst_unused:UNUSED_PAD src0_sel:WORD_1 src1_sel:DWORD
	v_mul_f16_sdwa v32, v23, v39 dst_sel:DWORD dst_unused:UNUSED_PAD src0_sel:WORD_1 src1_sel:DWORD
	v_fma_f16 v22, v23, v39, v22
	v_fma_f16 v23, v23, v53, -v32
	v_add_f16_e32 v32, v54, v0
	v_add_f16_sdwa v33, v1, v0 dst_sel:DWORD dst_unused:UNUSED_PAD src0_sel:DWORD src1_sel:WORD_1
	v_add_f16_e32 v32, v32, v12
	v_add_f16_e32 v33, v33, v2
	;; [unrolled: 1-line block ×21, first 2 shown]
	v_add_f16_sdwa v33, v33, v23 dst_sel:WORD_1 dst_unused:UNUSED_PAD src0_sel:DWORD src1_sel:DWORD
	v_add_f16_e32 v34, v1, v23
	v_sub_f16_e32 v1, v1, v23
	v_or_b32_e32 v32, v33, v32
	v_add_f16_e32 v33, v54, v22
	v_sub_f16_e32 v22, v54, v22
	v_mul_f16_e32 v23, 0xb770, v1
	v_mul_f16_e32 v36, 0x3b15, v34
	;; [unrolled: 1-line block ×12, first 2 shown]
	v_fma_f16 v35, v33, s15, v23
	v_fma_f16 v37, v22, s16, v36
	v_fma_f16 v23, v33, s15, -v23
	v_fma_f16 v36, v22, s14, v36
	v_fma_f16 v39, v33, s12, v38
	v_fma_f16 v50, v22, s13, v49
	v_fma_f16 v38, v33, s12, -v38
	v_fma_f16 v49, v22, s5, v49
	;; [unrolled: 4-line block ×6, first 2 shown]
	v_add_f16_e32 v33, v2, v11
	v_sub_f16_e32 v2, v2, v11
	v_add_f16_e32 v35, v35, v0
	v_add_f16_sdwa v37, v37, v0 dst_sel:DWORD dst_unused:UNUSED_PAD src0_sel:DWORD src1_sel:WORD_1
	v_add_f16_e32 v23, v23, v0
	v_add_f16_sdwa v36, v36, v0 dst_sel:DWORD dst_unused:UNUSED_PAD src0_sel:DWORD src1_sel:WORD_1
	;; [unrolled: 2-line block ×12, first 2 shown]
	v_add_f16_e32 v22, v12, v21
	v_mul_f16_e32 v11, 0xba95, v2
	v_sub_f16_e32 v12, v12, v21
	v_fma_f16 v21, v22, s12, v11
	v_mul_f16_e32 v34, 0x388b, v33
	v_fma_f16 v11, v22, s12, -v11
	v_add_f16_e32 v21, v21, v35
	v_fma_f16 v35, v12, s13, v34
	v_add_f16_e32 v11, v11, v23
	v_fma_f16 v23, v12, s5, v34
	v_mul_f16_e32 v34, 0xbb7b, v2
	v_add_f16_e32 v35, v35, v37
	v_add_f16_e32 v23, v23, v36
	v_fma_f16 v36, v22, s18, v34
	v_mul_f16_e32 v37, 0xb5ac, v33
	v_fma_f16 v34, v22, s18, -v34
	v_add_f16_e32 v36, v36, v39
	v_fma_f16 v39, v12, s19, v37
	v_add_f16_e32 v34, v34, v38
	v_fma_f16 v37, v12, s17, v37
	v_mul_f16_e32 v38, 0xb3a8, v2
	v_add_f16_e32 v39, v39, v50
	v_add_f16_e32 v37, v37, v49
	;; [unrolled: 10-line block ×4, first 2 shown]
	v_fma_f16 v57, v22, s3, v55
	v_mul_f16_e32 v58, 0x2fb7, v33
	v_fma_f16 v55, v22, s3, -v55
	v_mul_f16_e32 v2, 0x3770, v2
	v_add_f16_e32 v57, v57, v60
	v_fma_f16 v60, v12, s2, v58
	v_add_f16_e32 v55, v55, v59
	v_fma_f16 v58, v12, s4, v58
	v_fma_f16 v59, v22, s15, v2
	v_mul_f16_e32 v33, 0x3b15, v33
	v_fma_f16 v2, v22, s15, -v2
	v_add_f16_e32 v58, v58, v61
	v_fma_f16 v61, v12, s14, v33
	v_add_f16_e32 v1, v2, v1
	v_fma_f16 v2, v12, s16, v33
	v_add_f16_e32 v12, v3, v10
	v_sub_f16_e32 v3, v3, v10
	v_add_f16_e32 v0, v2, v0
	v_add_f16_e32 v2, v13, v20
	v_mul_f16_e32 v10, 0xbbf1, v3
	v_sub_f16_e32 v13, v13, v20
	v_fma_f16 v20, v2, s3, v10
	v_add_f16_e32 v20, v20, v21
	v_mul_f16_e32 v21, 0x2fb7, v12
	v_fma_f16 v10, v2, s3, -v10
	v_fma_f16 v22, v13, s4, v21
	v_add_f16_e32 v10, v10, v11
	v_fma_f16 v11, v13, s2, v21
	v_mul_f16_e32 v21, 0xb3a8, v3
	v_add_f16_e32 v11, v11, v23
	v_fma_f16 v23, v2, s24, v21
	v_fma_f16 v21, v2, s24, -v21
	v_mul_f16_e32 v33, 0xbbc4, v12
	v_add_f16_e32 v21, v21, v34
	v_mul_f16_e32 v34, 0x3b7b, v3
	v_add_f16_e32 v22, v22, v35
	v_add_f16_e32 v23, v23, v36
	v_fma_f16 v35, v13, s25, v33
	v_fma_f16 v33, v13, s23, v33
	;; [unrolled: 1-line block ×3, first 2 shown]
	v_fma_f16 v34, v2, s18, -v34
	v_add_f16_e32 v33, v33, v37
	v_mul_f16_e32 v37, 0xb5ac, v12
	v_add_f16_e32 v34, v34, v38
	v_mul_f16_e32 v38, 0x3770, v3
	v_add_f16_e32 v35, v35, v39
	v_add_f16_e32 v36, v36, v49
	v_fma_f16 v39, v13, s17, v37
	v_fma_f16 v37, v13, s19, v37
	;; [unrolled: 1-line block ×3, first 2 shown]
	v_fma_f16 v38, v2, s15, -v38
	v_add_f16_e32 v37, v37, v50
	v_mul_f16_e32 v50, 0x3b15, v12
	v_add_f16_e32 v38, v38, v51
	v_mul_f16_e32 v51, 0xba95, v3
	v_add_f16_e32 v39, v39, v52
	v_add_f16_e32 v49, v49, v53
	v_fma_f16 v52, v13, s14, v50
	v_fma_f16 v50, v13, s16, v50
	;; [unrolled: 1-line block ×3, first 2 shown]
	v_fma_f16 v51, v2, s12, -v51
	v_mul_f16_e32 v3, 0xb94e, v3
	v_add_f16_e32 v50, v50, v54
	v_mul_f16_e32 v54, 0x388b, v12
	v_add_f16_e32 v51, v51, v55
	v_fma_f16 v55, v2, s21, v3
	v_mul_f16_e32 v12, 0xb9fd, v12
	v_fma_f16 v2, v2, s21, -v3
	v_add_f16_e32 v1, v2, v1
	v_fma_f16 v2, v13, s20, v12
	v_add_f16_e32 v3, v4, v9
	v_sub_f16_e32 v4, v4, v9
	v_add_f16_e32 v0, v2, v0
	v_add_f16_e32 v2, v14, v19
	v_mul_f16_e32 v9, 0xbb7b, v4
	v_add_f16_e32 v52, v52, v56
	v_add_f16_e32 v53, v53, v57
	v_fma_f16 v56, v13, s13, v54
	v_fma_f16 v54, v13, s5, v54
	;; [unrolled: 1-line block ×3, first 2 shown]
	v_sub_f16_e32 v12, v14, v19
	v_fma_f16 v13, v2, s18, v9
	v_mul_f16_e32 v14, 0xb5ac, v3
	v_fma_f16 v9, v2, s18, -v9
	v_add_f16_e32 v9, v9, v10
	v_fma_f16 v10, v12, s17, v14
	v_add_f16_e32 v10, v10, v11
	v_mul_f16_e32 v11, 0x394e, v4
	v_fma_f16 v19, v12, s19, v14
	v_fma_f16 v14, v2, s21, v11
	v_fma_f16 v11, v2, s21, -v11
	v_add_f16_e32 v13, v13, v20
	v_mul_f16_e32 v20, 0xb9fd, v3
	v_add_f16_e32 v11, v11, v21
	v_mul_f16_e32 v21, 0x3770, v4
	v_add_f16_e32 v19, v19, v22
	v_add_f16_e32 v14, v14, v23
	v_fma_f16 v22, v12, s20, v20
	v_fma_f16 v20, v12, s22, v20
	v_fma_f16 v23, v2, s15, v21
	v_fma_f16 v21, v2, s15, -v21
	v_add_f16_e32 v20, v20, v33
	v_mul_f16_e32 v33, 0x3b15, v3
	v_add_f16_e32 v21, v21, v34
	v_mul_f16_e32 v34, 0xbbf1, v4
	v_add_f16_e32 v22, v22, v35
	v_add_f16_e32 v23, v23, v36
	v_fma_f16 v35, v12, s14, v33
	;; [unrolled: 10-line block ×3, first 2 shown]
	v_fma_f16 v37, v12, s2, v37
	v_fma_f16 v49, v2, s24, v38
	v_fma_f16 v38, v2, s24, -v38
	v_mul_f16_e32 v4, 0x3a95, v4
	v_add_f16_e32 v37, v37, v50
	v_mul_f16_e32 v50, 0xbbc4, v3
	v_add_f16_e32 v38, v38, v51
	v_fma_f16 v51, v2, s12, v4
	v_mul_f16_e32 v3, 0x388b, v3
	v_fma_f16 v2, v2, s12, -v4
	v_add_f16_e32 v49, v49, v53
	v_fma_f16 v53, v12, s5, v3
	v_add_f16_e32 v1, v2, v1
	v_fma_f16 v2, v12, s13, v3
	v_add_f16_e32 v3, v5, v8
	v_sub_f16_e32 v5, v5, v8
	v_add_f16_e32 v0, v2, v0
	v_add_f16_e32 v2, v15, v18
	v_mul_f16_e32 v8, 0xb94e, v5
	v_add_f16_e32 v39, v39, v52
	v_fma_f16 v52, v12, s23, v50
	v_fma_f16 v50, v12, s25, v50
	;; [unrolled: 1-line block ×3, first 2 shown]
	v_sub_f16_e32 v4, v15, v18
	v_add_f16_e32 v12, v12, v13
	v_mul_f16_e32 v13, 0xb9fd, v3
	v_fma_f16 v8, v2, s21, -v8
	v_add_f16_e32 v8, v8, v9
	v_fma_f16 v9, v4, s20, v13
	v_add_f16_e32 v9, v9, v10
	v_mul_f16_e32 v10, 0x3bf1, v5
	v_fma_f16 v15, v4, s22, v13
	v_fma_f16 v13, v2, s3, v10
	v_add_f16_e32 v13, v13, v14
	v_mul_f16_e32 v14, 0x2fb7, v3
	v_fma_f16 v10, v2, s3, -v10
	v_fma_f16 v18, v4, s2, v14
	v_add_f16_e32 v10, v10, v11
	v_fma_f16 v11, v4, s4, v14
	v_mul_f16_e32 v14, 0xba95, v5
	v_add_f16_e32 v15, v15, v19
	v_fma_f16 v19, v2, s12, v14
	v_fma_f16 v14, v2, s12, -v14
	v_add_f16_e32 v11, v11, v20
	v_mul_f16_e32 v20, 0x388b, v3
	v_add_f16_e32 v14, v14, v21
	v_mul_f16_e32 v21, 0x33a8, v5
	v_add_f16_e32 v18, v18, v22
	v_add_f16_e32 v19, v19, v23
	v_fma_f16 v22, v4, s13, v20
	v_fma_f16 v20, v4, s5, v20
	;; [unrolled: 1-line block ×3, first 2 shown]
	v_fma_f16 v21, v2, s24, -v21
	v_add_f16_e32 v20, v20, v33
	v_mul_f16_e32 v33, 0xbbc4, v3
	v_add_f16_e32 v21, v21, v34
	v_mul_f16_e32 v34, 0x3770, v5
	v_add_f16_e32 v22, v22, v35
	v_add_f16_e32 v23, v23, v36
	v_fma_f16 v35, v4, s23, v33
	v_fma_f16 v33, v4, s25, v33
	;; [unrolled: 1-line block ×3, first 2 shown]
	v_fma_f16 v34, v2, s15, -v34
	v_mul_f16_e32 v5, 0xbb7b, v5
	v_add_f16_e32 v33, v33, v37
	v_mul_f16_e32 v37, 0x3b15, v3
	v_add_f16_e32 v34, v34, v38
	v_fma_f16 v38, v2, s18, v5
	v_mul_f16_e32 v3, 0xb5ac, v3
	v_fma_f16 v2, v2, s18, -v5
	v_add_f16_e32 v1, v2, v1
	v_fma_f16 v2, v4, s17, v3
	v_sub_f16_e32 v5, v6, v7
	v_add_f16_e32 v36, v36, v49
	v_fma_f16 v49, v4, s19, v3
	v_add_f16_e32 v0, v2, v0
	v_add_f16_e32 v2, v16, v17
	;; [unrolled: 1-line block ×3, first 2 shown]
	v_mul_f16_e32 v6, 0xb3a8, v5
	v_fma_f16 v7, v2, s24, v6
	v_add_f16_e32 v35, v35, v39
	v_fma_f16 v39, v4, s14, v37
	v_fma_f16 v37, v4, s16, v37
	v_sub_f16_e32 v4, v16, v17
	v_add_f16_e32 v7, v7, v12
	v_mul_f16_e32 v12, 0xbbc4, v3
	v_fma_f16 v6, v2, s24, -v6
	v_add_f16_e32 v6, v6, v8
	v_fma_f16 v8, v4, s23, v12
	v_add_f16_e32 v8, v8, v9
	v_mul_f16_e32 v9, 0x3770, v5
	v_fma_f16 v16, v4, s25, v12
	v_fma_f16 v12, v2, s15, v9
	v_add_f16_e32 v12, v12, v13
	v_mul_f16_e32 v13, 0x3b15, v3
	v_fma_f16 v9, v2, s15, -v9
	v_add_f16_e32 v9, v9, v10
	v_fma_f16 v10, v4, s16, v13
	v_add_f16_e32 v10, v10, v11
	v_mul_f16_e32 v11, 0xb94e, v5
	v_add_f16_e32 v15, v16, v15
	v_fma_f16 v16, v4, s14, v13
	v_fma_f16 v13, v2, s21, v11
	v_mul_f16_e32 v17, 0xb9fd, v3
	v_fma_f16 v11, v2, s21, -v11
	v_add_f16_e32 v16, v16, v18
	v_fma_f16 v18, v4, s22, v17
	v_add_f16_e32 v11, v11, v14
	v_fma_f16 v14, v4, s20, v17
	v_mul_f16_e32 v17, 0x3a95, v5
	v_add_f16_e32 v13, v13, v19
	v_fma_f16 v19, v2, s12, v17
	v_fma_f16 v17, v2, s12, -v17
	v_add_f16_e32 v14, v14, v20
	v_mul_f16_e32 v20, 0x388b, v3
	v_add_f16_e32 v17, v17, v21
	v_mul_f16_e32 v21, 0xbb7b, v5
	v_add_f16_e32 v60, v60, v62
	v_add_f16_e32 v18, v18, v22
	;; [unrolled: 1-line block ×3, first 2 shown]
	v_fma_f16 v22, v4, s5, v20
	v_fma_f16 v20, v4, s13, v20
	;; [unrolled: 1-line block ×3, first 2 shown]
	v_fma_f16 v21, v2, s18, -v21
	v_mul_f16_e32 v5, 0x3bf1, v5
	v_add_f16_e32 v59, v59, v63
	v_add_f16_e32 v61, v61, v64
	;; [unrolled: 1-line block ×4, first 2 shown]
	v_mul_f16_e32 v33, 0xb5ac, v3
	v_add_f16_e32 v21, v21, v34
	v_fma_f16 v34, v2, s3, v5
	v_mul_f16_e32 v3, 0x2fb7, v3
	v_fma_f16 v2, v2, s3, -v5
	v_add_f16_e32 v55, v55, v59
	v_add_f16_e32 v57, v57, v61
	;; [unrolled: 1-line block ×4, first 2 shown]
	v_fma_f16 v2, v4, s4, v3
	v_add_f16_e32 v54, v54, v58
	v_add_f16_e32 v51, v51, v55
	;; [unrolled: 1-line block ×5, first 2 shown]
	v_fma_f16 v35, v4, s19, v33
	v_add_f16_e32 v0, v2, v0
	v_pack_b32_f16 v2, v7, v15
	v_add_f16_e32 v50, v50, v54
	v_add_f16_e32 v38, v38, v51
	;; [unrolled: 1-line block ×5, first 2 shown]
	v_fma_f16 v36, v4, s2, v3
	ds_write2_b32 v40, v32, v2 offset1:91
	v_pack_b32_f16 v2, v12, v16
	v_pack_b32_f16 v3, v13, v18
	v_add_f16_e32 v37, v37, v50
	v_fma_f16 v33, v4, s17, v33
	v_add_f16_e32 v34, v34, v38
	v_add_f16_e32 v36, v36, v49
	ds_write2_b32 v29, v2, v3 offset0:54 offset1:145
	v_pack_b32_f16 v2, v19, v22
	v_pack_b32_f16 v3, v23, v35
	v_add_f16_e32 v33, v33, v37
	ds_write2_b32 v28, v2, v3 offset0:108 offset1:199
	v_pack_b32_f16 v2, v34, v36
	v_pack_b32_f16 v0, v1, v0
	ds_write2_b32 v30, v2, v0 offset0:34 offset1:125
	v_pack_b32_f16 v0, v21, v33
	v_pack_b32_f16 v1, v17, v20
	;; [unrolled: 3-line block ×3, first 2 shown]
	ds_write2_b32 v31, v0, v1 offset0:142 offset1:233
	v_pack_b32_f16 v0, v6, v8
	ds_write_b32 v40, v0 offset:4368
	s_waitcnt lgkmcnt(0)
	s_barrier
	ds_read2_b32 v[0:1], v40 offset1:169
	s_mov_b32 s12, 0x43156c6a
	s_mov_b32 s13, 0x3f4bb2f6
	v_mad_u64_u32 v[3:4], s[2:3], s10, v26, 0
	s_waitcnt lgkmcnt(0)
	v_lshrrev_b32_e32 v9, 16, v0
	v_mul_f16_sdwa v2, v48, v9 dst_sel:DWORD dst_unused:UNUSED_PAD src0_sel:WORD_1 src1_sel:DWORD
	v_fma_f16 v2, v48, v0, v2
	v_cvt_f32_f16_e32 v2, v2
	s_movk_i32 s10, 0x1ff
	v_mul_f16_sdwa v0, v48, v0 dst_sel:DWORD dst_unused:UNUSED_PAD src0_sel:WORD_1 src1_sel:DWORD
	v_fma_f16 v0, v48, v9, -v0
	v_cvt_f64_f32_e32 v[5:6], v2
	v_mov_b32_e32 v2, v4
	v_mad_u64_u32 v[7:8], s[2:3], s11, v26, v[2:3]
	v_mul_f64 v[5:6], v[5:6], s[12:13]
	s_movk_i32 s11, 0xffe
	v_mov_b32_e32 v4, v7
	v_cvt_f32_f16_e32 v0, v0
	s_movk_i32 s14, 0x40f
	s_mov_b32 s15, 0x8000
	v_lshlrev_b64 v[3:4], 2, v[3:4]
	s_movk_i32 s16, 0x1000
	v_and_or_b32 v2, v6, s10, v5
	v_cmp_ne_u32_e32 vcc, 0, v2
	v_cndmask_b32_e64 v2, 0, 1, vcc
	v_lshrrev_b32_e32 v5, 8, v6
	v_bfe_u32 v7, v6, 20, 11
	v_and_or_b32 v5, v5, s11, v2
	v_sub_u32_e32 v8, 0x3f1, v7
	v_or_b32_e32 v2, 0x1000, v5
	v_med3_i32 v8, v8, 0, 13
	v_lshrrev_b32_e32 v10, v8, v2
	v_lshlrev_b32_e32 v8, v8, v10
	v_cmp_ne_u32_e32 vcc, v8, v2
	v_cndmask_b32_e64 v2, 0, 1, vcc
	v_or_b32_e32 v2, v10, v2
	v_add_u32_e32 v10, 0xfffffc10, v7
	v_lshl_or_b32 v7, v10, 12, v5
	v_cmp_gt_i32_e32 vcc, 1, v10
	v_cndmask_b32_e32 v2, v7, v2, vcc
	v_and_b32_e32 v7, 7, v2
	v_cmp_lt_i32_e32 vcc, 5, v7
	v_cmp_eq_u32_e64 s[2:3], 3, v7
	v_cvt_f64_f32_e32 v[7:8], v0
	v_lshrrev_b32_e32 v2, 2, v2
	s_or_b64 vcc, s[2:3], vcc
	v_addc_co_u32_e32 v9, vcc, 0, v2, vcc
	v_mul_f64 v[7:8], v[7:8], s[12:13]
	v_mov_b32_e32 v2, 0x7c00
	v_cmp_gt_i32_e32 vcc, 31, v10
	v_cndmask_b32_e32 v0, v2, v9, vcc
	v_cmp_ne_u32_e32 vcc, 0, v5
	v_cndmask_b32_e64 v5, 0, 1, vcc
	v_lshl_or_b32 v5, v5, 9, v2
	v_cmp_eq_u32_e32 vcc, s14, v10
	v_cndmask_b32_e32 v0, v0, v5, vcc
	v_lshrrev_b32_e32 v5, 16, v6
	v_and_or_b32 v9, v5, s15, v0
	v_and_or_b32 v0, v8, s10, v7
	v_cmp_ne_u32_e32 vcc, 0, v0
	v_cndmask_b32_e64 v0, 0, 1, vcc
	v_lshrrev_b32_e32 v5, 8, v8
	v_bfe_u32 v6, v8, 20, 11
	v_and_or_b32 v0, v5, s11, v0
	v_sub_u32_e32 v7, 0x3f1, v6
	v_or_b32_e32 v5, 0x1000, v0
	v_med3_i32 v7, v7, 0, 13
	v_lshrrev_b32_e32 v10, v7, v5
	v_lshlrev_b32_e32 v7, v7, v10
	v_cmp_ne_u32_e32 vcc, v7, v5
	v_cndmask_b32_e64 v5, 0, 1, vcc
	v_add_u32_e32 v7, 0xfffffc10, v6
	v_or_b32_e32 v5, v10, v5
	v_lshl_or_b32 v6, v7, 12, v0
	v_cmp_gt_i32_e32 vcc, 1, v7
	v_cndmask_b32_e32 v5, v6, v5, vcc
	v_and_b32_e32 v6, 7, v5
	v_cmp_lt_i32_e32 vcc, 5, v6
	v_cmp_eq_u32_e64 s[2:3], 3, v6
	v_lshrrev_b32_e32 v5, 2, v5
	s_or_b64 vcc, s[2:3], vcc
	v_addc_co_u32_e32 v5, vcc, 0, v5, vcc
	v_cmp_gt_i32_e32 vcc, 31, v7
	v_cndmask_b32_e32 v10, v2, v5, vcc
	v_mad_u64_u32 v[5:6], s[2:3], s8, v47, 0
	v_cmp_ne_u32_e32 vcc, 0, v0
	v_cndmask_b32_e64 v0, 0, 1, vcc
	v_lshl_or_b32 v0, v0, 9, v2
	v_cmp_eq_u32_e32 vcc, s14, v7
	v_cndmask_b32_e32 v10, v10, v0, vcc
	v_mov_b32_e32 v0, v6
	v_mad_u64_u32 v[6:7], s[2:3], s9, v47, v[0:1]
	v_lshrrev_b32_e32 v0, 16, v1
	v_mul_f16_sdwa v7, v46, v0 dst_sel:DWORD dst_unused:UNUSED_PAD src0_sel:WORD_1 src1_sel:DWORD
	v_fma_f16 v7, v46, v1, v7
	v_cvt_f32_f16_e32 v7, v7
	v_lshrrev_b32_e32 v8, 16, v8
	v_and_or_b32 v10, v8, s15, v10
	v_and_b32_e32 v9, 0xffff, v9
	v_cvt_f64_f32_e32 v[7:8], v7
	v_lshl_or_b32 v9, v10, 16, v9
	v_mov_b32_e32 v10, s7
	v_add_co_u32_e32 v11, vcc, s6, v3
	v_mul_f64 v[7:8], v[7:8], s[12:13]
	v_addc_co_u32_e32 v10, vcc, v10, v4, vcc
	v_lshlrev_b64 v[3:4], 2, v[5:6]
	v_mul_f16_sdwa v1, v46, v1 dst_sel:DWORD dst_unused:UNUSED_PAD src0_sel:WORD_1 src1_sel:DWORD
	v_add_co_u32_e32 v3, vcc, v11, v3
	v_addc_co_u32_e32 v4, vcc, v10, v4, vcc
	v_and_or_b32 v5, v8, s10, v7
	v_cmp_ne_u32_e32 vcc, 0, v5
	v_fma_f16 v0, v46, v0, -v1
	v_cndmask_b32_e64 v5, 0, 1, vcc
	v_lshrrev_b32_e32 v6, 8, v8
	v_bfe_u32 v7, v8, 20, 11
	v_cvt_f32_f16_e32 v0, v0
	global_store_dword v[3:4], v9, off
	v_and_or_b32 v5, v6, s11, v5
	v_sub_u32_e32 v9, 0x3f1, v7
	v_or_b32_e32 v6, 0x1000, v5
	v_med3_i32 v9, v9, 0, 13
	v_lshrrev_b32_e32 v10, v9, v6
	v_lshlrev_b32_e32 v9, v9, v10
	v_cvt_f64_f32_e32 v[0:1], v0
	v_cmp_ne_u32_e32 vcc, v9, v6
	v_cndmask_b32_e64 v6, 0, 1, vcc
	v_add_u32_e32 v7, 0xfffffc10, v7
	v_or_b32_e32 v6, v10, v6
	v_lshl_or_b32 v9, v7, 12, v5
	v_cmp_gt_i32_e32 vcc, 1, v7
	v_cndmask_b32_e32 v6, v9, v6, vcc
	v_mul_f64 v[0:1], v[0:1], s[12:13]
	v_and_b32_e32 v9, 7, v6
	v_cmp_lt_i32_e32 vcc, 5, v9
	v_cmp_eq_u32_e64 s[2:3], 3, v9
	v_lshrrev_b32_e32 v6, 2, v6
	s_or_b64 vcc, s[2:3], vcc
	v_addc_co_u32_e32 v6, vcc, 0, v6, vcc
	v_cmp_gt_i32_e32 vcc, 31, v7
	v_cndmask_b32_e32 v6, v2, v6, vcc
	v_cmp_ne_u32_e32 vcc, 0, v5
	v_cndmask_b32_e64 v5, 0, 1, vcc
	v_lshl_or_b32 v5, v5, 9, v2
	v_cmp_eq_u32_e32 vcc, s14, v7
	v_and_or_b32 v0, v1, s10, v0
	v_cndmask_b32_e32 v5, v6, v5, vcc
	v_lshrrev_b32_e32 v6, 16, v8
	v_cmp_ne_u32_e32 vcc, 0, v0
	v_and_or_b32 v7, v6, s15, v5
	v_cndmask_b32_e64 v0, 0, 1, vcc
	v_lshrrev_b32_e32 v5, 8, v1
	v_bfe_u32 v6, v1, 20, 11
	v_and_or_b32 v0, v5, s11, v0
	v_sub_u32_e32 v8, 0x3f1, v6
	v_or_b32_e32 v5, 0x1000, v0
	v_med3_i32 v8, v8, 0, 13
	v_lshrrev_b32_e32 v9, v8, v5
	v_lshlrev_b32_e32 v8, v8, v9
	v_cmp_ne_u32_e32 vcc, v8, v5
	v_cndmask_b32_e64 v5, 0, 1, vcc
	v_add_u32_e32 v8, 0xfffffc10, v6
	v_or_b32_e32 v5, v9, v5
	v_lshl_or_b32 v6, v8, 12, v0
	v_cmp_gt_i32_e32 vcc, 1, v8
	v_cndmask_b32_e32 v5, v6, v5, vcc
	v_and_b32_e32 v6, 7, v5
	v_cmp_lt_i32_e32 vcc, 5, v6
	v_cmp_eq_u32_e64 s[2:3], 3, v6
	v_lshrrev_b32_e32 v5, 2, v5
	s_or_b64 vcc, s[2:3], vcc
	v_addc_co_u32_e32 v5, vcc, 0, v5, vcc
	v_cmp_gt_i32_e32 vcc, 31, v8
	v_cndmask_b32_e32 v9, v2, v5, vcc
	ds_read2_b32 v[5:6], v28 offset0:82 offset1:251
	v_cmp_ne_u32_e32 vcc, 0, v0
	v_cndmask_b32_e64 v0, 0, 1, vcc
	v_lshl_or_b32 v0, v0, 9, v2
	v_cmp_eq_u32_e32 vcc, s14, v8
	v_cndmask_b32_e32 v0, v9, v0, vcc
	v_lshrrev_b32_e32 v1, 16, v1
	s_waitcnt lgkmcnt(0)
	v_lshrrev_b32_e32 v9, 16, v5
	v_and_or_b32 v8, v1, s15, v0
	v_mul_f16_sdwa v0, v45, v9 dst_sel:DWORD dst_unused:UNUSED_PAD src0_sel:WORD_1 src1_sel:DWORD
	v_fma_f16 v0, v45, v5, v0
	v_cvt_f32_f16_e32 v0, v0
	v_and_b32_e32 v7, 0xffff, v7
	v_lshl_or_b32 v10, v8, 16, v7
	s_mul_i32 s2, s9, 0xa9
	v_cvt_f64_f32_e32 v[0:1], v0
	s_mul_hi_u32 s3, s8, 0xa9
	s_add_i32 s3, s3, s2
	s_mul_i32 s2, s8, 0xa9
	v_mul_f64 v[7:8], v[0:1], s[12:13]
	s_lshl_b64 s[6:7], s[2:3], 2
	v_mov_b32_e32 v1, s7
	v_add_co_u32_e32 v3, vcc, s6, v3
	v_addc_co_u32_e32 v4, vcc, v4, v1, vcc
	global_store_dword v[3:4], v10, off
	v_and_or_b32 v0, v8, s10, v7
	v_cmp_ne_u32_e32 vcc, 0, v0
	v_cndmask_b32_e64 v0, 0, 1, vcc
	v_lshrrev_b32_e32 v7, 8, v8
	v_bfe_u32 v10, v8, 20, 11
	v_and_or_b32 v0, v7, s11, v0
	v_sub_u32_e32 v11, 0x3f1, v10
	v_or_b32_e32 v7, 0x1000, v0
	v_med3_i32 v11, v11, 0, 13
	v_lshrrev_b32_e32 v12, v11, v7
	v_lshlrev_b32_e32 v11, v11, v12
	v_mul_f16_sdwa v5, v45, v5 dst_sel:DWORD dst_unused:UNUSED_PAD src0_sel:WORD_1 src1_sel:DWORD
	v_cmp_ne_u32_e32 vcc, v11, v7
	v_fma_f16 v5, v45, v9, -v5
	v_cndmask_b32_e64 v7, 0, 1, vcc
	v_add_u32_e32 v11, 0xfffffc10, v10
	v_cvt_f32_f16_e32 v5, v5
	v_or_b32_e32 v7, v12, v7
	v_lshl_or_b32 v10, v11, 12, v0
	v_cmp_gt_i32_e32 vcc, 1, v11
	v_cndmask_b32_e32 v7, v10, v7, vcc
	v_and_b32_e32 v10, 7, v7
	v_cmp_lt_i32_e32 vcc, 5, v10
	v_cmp_eq_u32_e64 s[2:3], 3, v10
	v_cvt_f64_f32_e32 v[9:10], v5
	v_lshrrev_b32_e32 v7, 2, v7
	s_or_b64 vcc, s[2:3], vcc
	v_addc_co_u32_e32 v5, vcc, 0, v7, vcc
	v_mul_f64 v[9:10], v[9:10], s[12:13]
	v_cmp_gt_i32_e32 vcc, 31, v11
	v_cndmask_b32_e32 v5, v2, v5, vcc
	v_cmp_ne_u32_e32 vcc, 0, v0
	v_cndmask_b32_e64 v0, 0, 1, vcc
	v_lshl_or_b32 v0, v0, 9, v2
	v_cmp_eq_u32_e32 vcc, s14, v11
	v_cndmask_b32_e32 v0, v5, v0, vcc
	v_lshrrev_b32_e32 v5, 16, v8
	v_and_or_b32 v0, v5, s15, v0
	v_and_or_b32 v5, v10, s10, v9
	v_cmp_ne_u32_e32 vcc, 0, v5
	v_cndmask_b32_e64 v5, 0, 1, vcc
	v_lshrrev_b32_e32 v7, 8, v10
	v_bfe_u32 v8, v10, 20, 11
	v_and_or_b32 v5, v7, s11, v5
	v_sub_u32_e32 v9, 0x3f1, v8
	v_or_b32_e32 v7, 0x1000, v5
	v_med3_i32 v9, v9, 0, 13
	v_lshrrev_b32_e32 v11, v9, v7
	v_lshlrev_b32_e32 v9, v9, v11
	v_cmp_ne_u32_e32 vcc, v9, v7
	v_cndmask_b32_e64 v7, 0, 1, vcc
	v_add_u32_e32 v9, 0xfffffc10, v8
	v_or_b32_e32 v7, v11, v7
	v_lshl_or_b32 v8, v9, 12, v5
	v_cmp_gt_i32_e32 vcc, 1, v9
	v_cndmask_b32_e32 v7, v8, v7, vcc
	v_and_b32_e32 v8, 7, v7
	v_cmp_lt_i32_e32 vcc, 5, v8
	v_cmp_eq_u32_e64 s[2:3], 3, v8
	v_lshrrev_b32_e32 v7, 2, v7
	s_or_b64 vcc, s[2:3], vcc
	v_addc_co_u32_e32 v7, vcc, 0, v7, vcc
	v_cmp_gt_i32_e32 vcc, 31, v9
	v_lshrrev_b32_e32 v12, 16, v6
	v_cndmask_b32_e32 v11, v2, v7, vcc
	v_mul_f16_sdwa v7, v44, v12 dst_sel:DWORD dst_unused:UNUSED_PAD src0_sel:WORD_1 src1_sel:DWORD
	v_fma_f16 v7, v44, v6, v7
	v_cvt_f32_f16_e32 v7, v7
	v_cmp_ne_u32_e32 vcc, 0, v5
	v_cndmask_b32_e64 v5, 0, 1, vcc
	v_lshl_or_b32 v5, v5, 9, v2
	v_cvt_f64_f32_e32 v[7:8], v7
	v_cmp_eq_u32_e32 vcc, s14, v9
	v_cndmask_b32_e32 v5, v11, v5, vcc
	v_lshrrev_b32_e32 v9, 16, v10
	v_mul_f64 v[7:8], v[7:8], s[12:13]
	v_and_or_b32 v5, v9, s15, v5
	v_and_b32_e32 v0, 0xffff, v0
	v_add_co_u32_e32 v3, vcc, s6, v3
	v_lshl_or_b32 v0, v5, 16, v0
	v_addc_co_u32_e32 v4, vcc, v4, v1, vcc
	global_store_dword v[3:4], v0, off
	v_and_or_b32 v0, v8, s10, v7
	v_cmp_ne_u32_e32 vcc, 0, v0
	v_cndmask_b32_e64 v0, 0, 1, vcc
	v_lshrrev_b32_e32 v5, 8, v8
	v_bfe_u32 v7, v8, 20, 11
	v_and_or_b32 v0, v5, s11, v0
	v_sub_u32_e32 v9, 0x3f1, v7
	v_or_b32_e32 v5, 0x1000, v0
	v_med3_i32 v9, v9, 0, 13
	v_lshrrev_b32_e32 v10, v9, v5
	v_lshlrev_b32_e32 v9, v9, v10
	v_mul_f16_sdwa v6, v44, v6 dst_sel:DWORD dst_unused:UNUSED_PAD src0_sel:WORD_1 src1_sel:DWORD
	v_cmp_ne_u32_e32 vcc, v9, v5
	v_fma_f16 v6, v44, v12, -v6
	v_cndmask_b32_e64 v5, 0, 1, vcc
	v_add_u32_e32 v7, 0xfffffc10, v7
	v_cvt_f32_f16_e32 v6, v6
	v_or_b32_e32 v5, v10, v5
	v_lshl_or_b32 v9, v7, 12, v0
	v_cmp_gt_i32_e32 vcc, 1, v7
	v_cndmask_b32_e32 v5, v9, v5, vcc
	v_and_b32_e32 v9, 7, v5
	v_cmp_lt_i32_e32 vcc, 5, v9
	v_cmp_eq_u32_e64 s[2:3], 3, v9
	v_lshrrev_b32_e32 v9, 2, v5
	v_cvt_f64_f32_e32 v[5:6], v6
	s_or_b64 vcc, s[2:3], vcc
	v_addc_co_u32_e32 v9, vcc, 0, v9, vcc
	v_mul_f64 v[5:6], v[5:6], s[12:13]
	v_cmp_gt_i32_e32 vcc, 31, v7
	v_cndmask_b32_e32 v9, v2, v9, vcc
	v_cmp_ne_u32_e32 vcc, 0, v0
	v_cndmask_b32_e64 v0, 0, 1, vcc
	v_lshl_or_b32 v0, v0, 9, v2
	v_cmp_eq_u32_e32 vcc, s14, v7
	v_cndmask_b32_e32 v0, v9, v0, vcc
	v_and_or_b32 v5, v6, s10, v5
	v_lshrrev_b32_e32 v7, 16, v8
	v_cmp_ne_u32_e32 vcc, 0, v5
	v_and_or_b32 v0, v7, s15, v0
	v_cndmask_b32_e64 v5, 0, 1, vcc
	v_lshrrev_b32_e32 v7, 8, v6
	v_bfe_u32 v8, v6, 20, 11
	v_and_or_b32 v5, v7, s11, v5
	v_sub_u32_e32 v9, 0x3f1, v8
	v_or_b32_e32 v7, 0x1000, v5
	v_med3_i32 v9, v9, 0, 13
	v_lshrrev_b32_e32 v10, v9, v7
	v_lshlrev_b32_e32 v9, v9, v10
	v_cmp_ne_u32_e32 vcc, v9, v7
	v_cndmask_b32_e64 v7, 0, 1, vcc
	v_add_u32_e32 v11, 0xfffffc10, v8
	v_or_b32_e32 v7, v10, v7
	v_lshl_or_b32 v8, v11, 12, v5
	v_cmp_gt_i32_e32 vcc, 1, v11
	v_cndmask_b32_e32 v7, v8, v7, vcc
	v_and_b32_e32 v8, 7, v7
	v_cmp_lt_i32_e32 vcc, 5, v8
	v_cmp_eq_u32_e64 s[2:3], 3, v8
	v_lshrrev_b32_e32 v9, 2, v7
	ds_read2_b32 v[7:8], v27 offset0:36 offset1:205
	s_or_b64 vcc, s[2:3], vcc
	v_addc_co_u32_e32 v9, vcc, 0, v9, vcc
	v_cmp_gt_i32_e32 vcc, 31, v11
	s_waitcnt lgkmcnt(0)
	v_lshrrev_b32_e32 v13, 16, v7
	v_cndmask_b32_e32 v12, v2, v9, vcc
	v_mul_f16_sdwa v9, v43, v13 dst_sel:DWORD dst_unused:UNUSED_PAD src0_sel:WORD_1 src1_sel:DWORD
	v_fma_f16 v9, v43, v7, v9
	v_cvt_f32_f16_e32 v9, v9
	v_cmp_ne_u32_e32 vcc, 0, v5
	v_cndmask_b32_e64 v5, 0, 1, vcc
	v_lshl_or_b32 v5, v5, 9, v2
	v_cvt_f64_f32_e32 v[9:10], v9
	v_cmp_eq_u32_e32 vcc, s14, v11
	v_cndmask_b32_e32 v5, v12, v5, vcc
	v_lshrrev_b32_e32 v6, 16, v6
	v_and_or_b32 v11, v6, s15, v5
	v_mul_f64 v[5:6], v[9:10], s[12:13]
	v_and_b32_e32 v0, 0xffff, v0
	v_add_co_u32_e32 v3, vcc, s6, v3
	v_lshl_or_b32 v0, v11, 16, v0
	v_addc_co_u32_e32 v4, vcc, v4, v1, vcc
	global_store_dword v[3:4], v0, off
	v_and_or_b32 v0, v6, s10, v5
	v_cmp_ne_u32_e32 vcc, 0, v0
	v_cndmask_b32_e64 v0, 0, 1, vcc
	v_lshrrev_b32_e32 v5, 8, v6
	v_bfe_u32 v9, v6, 20, 11
	v_and_or_b32 v0, v5, s11, v0
	v_sub_u32_e32 v10, 0x3f1, v9
	v_or_b32_e32 v5, 0x1000, v0
	v_med3_i32 v10, v10, 0, 13
	v_lshrrev_b32_e32 v11, v10, v5
	v_lshlrev_b32_e32 v10, v10, v11
	v_cmp_ne_u32_e32 vcc, v10, v5
	v_mul_f16_sdwa v7, v43, v7 dst_sel:DWORD dst_unused:UNUSED_PAD src0_sel:WORD_1 src1_sel:DWORD
	v_cndmask_b32_e64 v5, 0, 1, vcc
	v_fma_f16 v7, v43, v13, -v7
	v_or_b32_e32 v5, v11, v5
	v_add_u32_e32 v11, 0xfffffc10, v9
	v_cvt_f32_f16_e32 v7, v7
	v_lshl_or_b32 v9, v11, 12, v0
	v_cmp_gt_i32_e32 vcc, 1, v11
	v_cndmask_b32_e32 v5, v9, v5, vcc
	v_and_b32_e32 v9, 7, v5
	v_cmp_lt_i32_e32 vcc, 5, v9
	v_cmp_eq_u32_e64 s[2:3], 3, v9
	v_cvt_f64_f32_e32 v[9:10], v7
	v_lshrrev_b32_e32 v5, 2, v5
	s_or_b64 vcc, s[2:3], vcc
	v_addc_co_u32_e32 v5, vcc, 0, v5, vcc
	v_mul_f64 v[9:10], v[9:10], s[12:13]
	v_cmp_gt_i32_e32 vcc, 31, v11
	v_cndmask_b32_e32 v5, v2, v5, vcc
	v_cmp_ne_u32_e32 vcc, 0, v0
	v_cndmask_b32_e64 v0, 0, 1, vcc
	v_lshl_or_b32 v0, v0, 9, v2
	v_cmp_eq_u32_e32 vcc, s14, v11
	v_cndmask_b32_e32 v0, v5, v0, vcc
	v_lshrrev_b32_e32 v5, 16, v6
	v_and_or_b32 v0, v5, s15, v0
	v_and_or_b32 v5, v10, s10, v9
	v_cmp_ne_u32_e32 vcc, 0, v5
	v_cndmask_b32_e64 v5, 0, 1, vcc
	v_lshrrev_b32_e32 v6, 8, v10
	v_bfe_u32 v7, v10, 20, 11
	v_and_or_b32 v5, v6, s11, v5
	v_sub_u32_e32 v9, 0x3f1, v7
	v_or_b32_e32 v6, 0x1000, v5
	v_med3_i32 v9, v9, 0, 13
	v_lshrrev_b32_e32 v11, v9, v6
	v_lshlrev_b32_e32 v9, v9, v11
	v_cmp_ne_u32_e32 vcc, v9, v6
	v_cndmask_b32_e64 v6, 0, 1, vcc
	v_add_u32_e32 v7, 0xfffffc10, v7
	v_or_b32_e32 v6, v11, v6
	v_lshl_or_b32 v9, v7, 12, v5
	v_cmp_gt_i32_e32 vcc, 1, v7
	v_cndmask_b32_e32 v6, v9, v6, vcc
	v_and_b32_e32 v9, 7, v6
	v_cmp_lt_i32_e32 vcc, 5, v9
	v_cmp_eq_u32_e64 s[2:3], 3, v9
	v_lshrrev_b32_e32 v6, 2, v6
	s_or_b64 vcc, s[2:3], vcc
	v_addc_co_u32_e32 v6, vcc, 0, v6, vcc
	v_cmp_gt_i32_e32 vcc, 31, v7
	v_lshrrev_b32_e32 v11, 16, v8
	v_cndmask_b32_e32 v9, v2, v6, vcc
	v_mul_f16_sdwa v6, v42, v11 dst_sel:DWORD dst_unused:UNUSED_PAD src0_sel:WORD_1 src1_sel:DWORD
	v_fma_f16 v6, v42, v8, v6
	v_cvt_f32_f16_e32 v6, v6
	v_cmp_ne_u32_e32 vcc, 0, v5
	v_cndmask_b32_e64 v5, 0, 1, vcc
	v_lshl_or_b32 v12, v5, 9, v2
	v_cvt_f64_f32_e32 v[5:6], v6
	v_cmp_eq_u32_e32 vcc, s14, v7
	v_cndmask_b32_e32 v7, v9, v12, vcc
	v_lshrrev_b32_e32 v9, 16, v10
	v_mul_f64 v[5:6], v[5:6], s[12:13]
	v_and_or_b32 v7, v9, s15, v7
	v_and_b32_e32 v0, 0xffff, v0
	v_add_co_u32_e32 v3, vcc, s6, v3
	v_lshl_or_b32 v0, v7, 16, v0
	v_addc_co_u32_e32 v4, vcc, v4, v1, vcc
	global_store_dword v[3:4], v0, off
	v_and_or_b32 v0, v6, s10, v5
	v_cmp_ne_u32_e32 vcc, 0, v0
	v_cndmask_b32_e64 v0, 0, 1, vcc
	v_lshrrev_b32_e32 v5, 8, v6
	v_bfe_u32 v7, v6, 20, 11
	v_and_or_b32 v0, v5, s11, v0
	v_sub_u32_e32 v9, 0x3f1, v7
	v_or_b32_e32 v5, 0x1000, v0
	v_med3_i32 v9, v9, 0, 13
	v_lshrrev_b32_e32 v10, v9, v5
	v_lshlrev_b32_e32 v9, v9, v10
	v_mul_f16_sdwa v8, v42, v8 dst_sel:DWORD dst_unused:UNUSED_PAD src0_sel:WORD_1 src1_sel:DWORD
	v_cmp_ne_u32_e32 vcc, v9, v5
	v_fma_f16 v8, v42, v11, -v8
	v_cndmask_b32_e64 v5, 0, 1, vcc
	v_add_u32_e32 v9, 0xfffffc10, v7
	v_cvt_f32_f16_e32 v8, v8
	v_or_b32_e32 v5, v10, v5
	v_lshl_or_b32 v7, v9, 12, v0
	v_cmp_gt_i32_e32 vcc, 1, v9
	v_cndmask_b32_e32 v5, v7, v5, vcc
	v_and_b32_e32 v7, 7, v5
	v_cmp_lt_i32_e32 vcc, 5, v7
	v_cmp_eq_u32_e64 s[2:3], 3, v7
	v_cvt_f64_f32_e32 v[7:8], v8
	v_lshrrev_b32_e32 v5, 2, v5
	s_or_b64 vcc, s[2:3], vcc
	v_addc_co_u32_e32 v5, vcc, 0, v5, vcc
	v_mul_f64 v[7:8], v[7:8], s[12:13]
	v_cmp_gt_i32_e32 vcc, 31, v9
	v_cndmask_b32_e32 v5, v2, v5, vcc
	v_cmp_ne_u32_e32 vcc, 0, v0
	v_cndmask_b32_e64 v0, 0, 1, vcc
	v_lshl_or_b32 v0, v0, 9, v2
	v_cmp_eq_u32_e32 vcc, s14, v9
	v_cndmask_b32_e32 v0, v5, v0, vcc
	v_lshrrev_b32_e32 v5, 16, v6
	v_and_or_b32 v0, v5, s15, v0
	v_and_or_b32 v5, v8, s10, v7
	v_cmp_ne_u32_e32 vcc, 0, v5
	v_cndmask_b32_e64 v5, 0, 1, vcc
	v_lshrrev_b32_e32 v6, 8, v8
	v_bfe_u32 v7, v8, 20, 11
	v_and_or_b32 v5, v6, s11, v5
	v_sub_u32_e32 v9, 0x3f1, v7
	v_or_b32_e32 v6, 0x1000, v5
	v_med3_i32 v9, v9, 0, 13
	v_lshrrev_b32_e32 v10, v9, v6
	v_lshlrev_b32_e32 v9, v9, v10
	v_cmp_ne_u32_e32 vcc, v9, v6
	v_cndmask_b32_e64 v6, 0, 1, vcc
	v_add_u32_e32 v7, 0xfffffc10, v7
	v_or_b32_e32 v6, v10, v6
	v_lshl_or_b32 v9, v7, 12, v5
	v_cmp_gt_i32_e32 vcc, 1, v7
	v_cndmask_b32_e32 v6, v9, v6, vcc
	v_and_b32_e32 v9, 7, v6
	v_cmp_lt_i32_e32 vcc, 5, v9
	v_cmp_eq_u32_e64 s[2:3], 3, v9
	ds_read_b32 v9, v40 offset:4056
	v_lshrrev_b32_e32 v6, 2, v6
	s_or_b64 vcc, s[2:3], vcc
	v_addc_co_u32_e32 v6, vcc, 0, v6, vcc
	v_cmp_gt_i32_e32 vcc, 31, v7
	s_waitcnt lgkmcnt(0)
	v_lshrrev_b32_e32 v11, 16, v9
	v_cndmask_b32_e32 v10, v2, v6, vcc
	v_mul_f16_sdwa v6, v41, v11 dst_sel:DWORD dst_unused:UNUSED_PAD src0_sel:WORD_1 src1_sel:DWORD
	v_fma_f16 v6, v41, v9, v6
	v_cvt_f32_f16_e32 v6, v6
	v_cmp_ne_u32_e32 vcc, 0, v5
	v_cndmask_b32_e64 v5, 0, 1, vcc
	v_lshl_or_b32 v12, v5, 9, v2
	v_cvt_f64_f32_e32 v[5:6], v6
	v_cmp_eq_u32_e32 vcc, s14, v7
	v_cndmask_b32_e32 v7, v10, v12, vcc
	v_lshrrev_b32_e32 v8, 16, v8
	v_mul_f64 v[5:6], v[5:6], s[12:13]
	v_and_or_b32 v7, v8, s15, v7
	v_and_b32_e32 v0, 0xffff, v0
	v_add_co_u32_e32 v3, vcc, s6, v3
	v_lshl_or_b32 v0, v7, 16, v0
	v_addc_co_u32_e32 v4, vcc, v4, v1, vcc
	global_store_dword v[3:4], v0, off
	v_and_or_b32 v0, v6, s10, v5
	v_cmp_ne_u32_e32 vcc, 0, v0
	v_cndmask_b32_e64 v0, 0, 1, vcc
	v_lshrrev_b32_e32 v5, 8, v6
	v_bfe_u32 v7, v6, 20, 11
	v_and_or_b32 v0, v5, s11, v0
	v_sub_u32_e32 v8, 0x3f1, v7
	v_or_b32_e32 v5, 0x1000, v0
	v_med3_i32 v8, v8, 0, 13
	v_lshrrev_b32_e32 v10, v8, v5
	v_lshlrev_b32_e32 v8, v8, v10
	v_cmp_ne_u32_e32 vcc, v8, v5
	v_mul_f16_sdwa v8, v41, v9 dst_sel:DWORD dst_unused:UNUSED_PAD src0_sel:WORD_1 src1_sel:DWORD
	v_cndmask_b32_e64 v5, 0, 1, vcc
	v_fma_f16 v8, v41, v11, -v8
	v_or_b32_e32 v5, v10, v5
	v_add_u32_e32 v10, 0xfffffc10, v7
	v_cvt_f32_f16_e32 v8, v8
	v_lshl_or_b32 v7, v10, 12, v0
	v_cmp_gt_i32_e32 vcc, 1, v10
	v_cndmask_b32_e32 v5, v7, v5, vcc
	v_and_b32_e32 v7, 7, v5
	v_cmp_lt_i32_e32 vcc, 5, v7
	v_cmp_eq_u32_e64 s[2:3], 3, v7
	v_cvt_f64_f32_e32 v[7:8], v8
	v_lshrrev_b32_e32 v5, 2, v5
	s_or_b64 vcc, s[2:3], vcc
	v_addc_co_u32_e32 v5, vcc, 0, v5, vcc
	v_mul_f64 v[7:8], v[7:8], s[12:13]
	v_cmp_gt_i32_e32 vcc, 31, v10
	v_cndmask_b32_e32 v5, v2, v5, vcc
	v_cmp_ne_u32_e32 vcc, 0, v0
	v_cndmask_b32_e64 v0, 0, 1, vcc
	v_lshl_or_b32 v0, v0, 9, v2
	v_cmp_eq_u32_e32 vcc, s14, v10
	v_cndmask_b32_e32 v0, v5, v0, vcc
	v_lshrrev_b32_e32 v5, 16, v6
	v_and_or_b32 v0, v5, s15, v0
	v_and_or_b32 v5, v8, s10, v7
	v_cmp_ne_u32_e32 vcc, 0, v5
	v_cndmask_b32_e64 v5, 0, 1, vcc
	v_lshrrev_b32_e32 v6, 8, v8
	v_bfe_u32 v7, v8, 20, 11
	v_and_or_b32 v5, v6, s11, v5
	v_sub_u32_e32 v9, 0x3f1, v7
	v_or_b32_e32 v6, 0x1000, v5
	v_med3_i32 v9, v9, 0, 13
	v_lshrrev_b32_e32 v10, v9, v6
	v_lshlrev_b32_e32 v9, v9, v10
	v_cmp_ne_u32_e32 vcc, v9, v6
	v_cndmask_b32_e64 v6, 0, 1, vcc
	v_add_u32_e32 v7, 0xfffffc10, v7
	v_or_b32_e32 v6, v10, v6
	v_lshl_or_b32 v9, v7, 12, v5
	v_cmp_gt_i32_e32 vcc, 1, v7
	v_cndmask_b32_e32 v6, v9, v6, vcc
	v_and_b32_e32 v9, 7, v6
	v_cmp_lt_i32_e32 vcc, 5, v9
	v_cmp_eq_u32_e64 s[2:3], 3, v9
	v_lshrrev_b32_e32 v6, 2, v6
	s_or_b64 vcc, s[2:3], vcc
	v_addc_co_u32_e32 v6, vcc, 0, v6, vcc
	v_cmp_gt_i32_e32 vcc, 31, v7
	v_cndmask_b32_e32 v6, v2, v6, vcc
	v_cmp_ne_u32_e32 vcc, 0, v5
	v_cndmask_b32_e64 v5, 0, 1, vcc
	v_lshl_or_b32 v5, v5, 9, v2
	v_cmp_eq_u32_e32 vcc, s14, v7
	v_cndmask_b32_e32 v5, v6, v5, vcc
	v_lshrrev_b32_e32 v6, 16, v8
	v_and_or_b32 v5, v6, s15, v5
	v_and_b32_e32 v0, 0xffff, v0
	v_lshl_or_b32 v5, v5, 16, v0
	v_add_co_u32_e32 v0, vcc, s6, v3
	v_addc_co_u32_e32 v1, vcc, v4, v1, vcc
	global_store_dword v[0:1], v5, off
	s_and_b64 exec, exec, s[0:1]
	s_cbranch_execz .LBB0_15
; %bb.14:
	global_load_dword v5, v[24:25], off offset:364
	global_load_dword v11, v[24:25], off offset:1040
	v_add_u32_e32 v3, 0x100, v40
	ds_read2_b32 v[3:4], v3 offset0:27 offset1:196
	global_load_dword v12, v[24:25], off offset:1716
	global_load_dword v13, v[24:25], off offset:2392
	;; [unrolled: 1-line block ×3, first 2 shown]
	v_mov_b32_e32 v9, 0xfffff194
	v_mad_u64_u32 v[0:1], s[2:3], s8, v9, v[0:1]
	s_waitcnt lgkmcnt(0)
	v_lshrrev_b32_e32 v6, 16, v3
	v_lshrrev_b32_e32 v15, 16, v4
	s_mul_i32 s0, s9, 0xfffff194
	s_sub_i32 s0, s0, s8
	v_add_u32_e32 v1, s0, v1
	s_waitcnt vmcnt(4)
	v_mul_f16_sdwa v7, v6, v5 dst_sel:DWORD dst_unused:UNUSED_PAD src0_sel:DWORD src1_sel:WORD_1
	v_mul_f16_sdwa v8, v3, v5 dst_sel:DWORD dst_unused:UNUSED_PAD src0_sel:DWORD src1_sel:WORD_1
	v_fma_f16 v3, v3, v5, v7
	v_cvt_f32_f16_e32 v3, v3
	s_waitcnt vmcnt(3)
	v_mul_f16_sdwa v7, v15, v11 dst_sel:DWORD dst_unused:UNUSED_PAD src0_sel:DWORD src1_sel:WORD_1
	v_fma_f16 v5, v5, v6, -v8
	v_cvt_f32_f16_e32 v8, v5
	v_cvt_f64_f32_e32 v[5:6], v3
	v_fma_f16 v3, v4, v11, v7
	v_cvt_f32_f16_e32 v3, v3
	v_cvt_f64_f32_e32 v[7:8], v8
	v_mul_f64 v[5:6], v[5:6], s[12:13]
	v_mul_f16_sdwa v4, v4, v11 dst_sel:DWORD dst_unused:UNUSED_PAD src0_sel:DWORD src1_sel:WORD_1
	v_cvt_f64_f32_e32 v[9:10], v3
	v_mul_f64 v[7:8], v[7:8], s[12:13]
	v_fma_f16 v4, v11, v15, -v4
	v_cvt_f32_f16_e32 v4, v4
	v_mul_f64 v[9:10], v[9:10], s[12:13]
	v_and_or_b32 v3, v6, s10, v5
	v_cmp_ne_u32_e32 vcc, 0, v3
	v_lshrrev_b32_e32 v5, 8, v6
	v_and_or_b32 v7, v8, s10, v7
	v_bfe_u32 v16, v6, 20, 11
	v_cndmask_b32_e64 v3, 0, 1, vcc
	v_and_or_b32 v9, v10, s10, v9
	v_cmp_ne_u32_e32 vcc, 0, v7
	v_lshrrev_b32_e32 v17, 8, v8
	v_bfe_u32 v18, v8, 20, 11
	v_bfe_u32 v20, v10, 20, 11
	v_sub_u32_e32 v21, 0x3f1, v16
	v_cndmask_b32_e64 v7, 0, 1, vcc
	v_cmp_ne_u32_e32 vcc, 0, v9
	v_and_or_b32 v3, v5, s11, v3
	v_lshrrev_b32_e32 v19, 8, v10
	v_sub_u32_e32 v22, 0x3f1, v18
	v_cndmask_b32_e64 v9, 0, 1, vcc
	v_sub_u32_e32 v23, 0x3f1, v20
	v_med3_i32 v5, v21, 0, 13
	v_and_or_b32 v7, v17, s11, v7
	v_or_b32_e32 v21, 0x1000, v3
	v_add_u32_e32 v16, 0xfffffc10, v16
	v_med3_i32 v17, v22, 0, 13
	v_and_or_b32 v9, v19, s11, v9
	v_med3_i32 v19, v23, 0, 13
	v_cmp_ne_u32_e32 vcc, 0, v3
	v_or_b32_e32 v23, 0x1000, v7
	v_lshrrev_b32_e32 v28, v5, v21
	v_add_u32_e32 v18, 0xfffffc10, v18
	v_lshl_or_b32 v22, v16, 12, v3
	v_cndmask_b32_e64 v3, 0, 1, vcc
	v_cmp_ne_u32_e32 vcc, 0, v7
	v_or_b32_e32 v27, 0x1000, v9
	v_lshrrev_b32_e32 v29, v17, v23
	v_lshlrev_b32_e32 v5, v5, v28
	v_lshl_or_b32 v26, v18, 12, v7
	v_cndmask_b32_e64 v7, 0, 1, vcc
	v_lshrrev_b32_e32 v30, v19, v27
	v_lshlrev_b32_e32 v17, v17, v29
	v_cmp_ne_u32_e32 vcc, v5, v21
	v_lshlrev_b32_e32 v19, v19, v30
	v_cndmask_b32_e64 v5, 0, 1, vcc
	v_cmp_ne_u32_e32 vcc, v17, v23
	v_cndmask_b32_e64 v17, 0, 1, vcc
	v_cmp_ne_u32_e32 vcc, v19, v27
	v_cndmask_b32_e64 v19, 0, 1, vcc
	v_or_b32_e32 v5, v28, v5
	v_cmp_gt_i32_e32 vcc, 1, v16
	v_cndmask_b32_e32 v5, v22, v5, vcc
	v_or_b32_e32 v17, v29, v17
	v_cmp_gt_i32_e32 vcc, 1, v18
	v_and_b32_e32 v21, 7, v5
	v_cndmask_b32_e32 v17, v26, v17, vcc
	v_cmp_lt_i32_e32 vcc, 5, v21
	v_cmp_eq_u32_e64 s[0:1], 3, v21
	v_lshrrev_b32_e32 v5, 2, v5
	v_and_b32_e32 v22, 7, v17
	s_or_b64 vcc, s[0:1], vcc
	v_cmp_lt_i32_e64 s[2:3], 5, v22
	v_cmp_eq_u32_e64 s[4:5], 3, v22
	v_addc_co_u32_e32 v5, vcc, 0, v5, vcc
	v_lshrrev_b32_e32 v17, 2, v17
	s_or_b64 vcc, s[4:5], s[2:3]
	v_addc_co_u32_e32 v17, vcc, 0, v17, vcc
	v_cmp_gt_i32_e32 vcc, 31, v16
	v_cndmask_b32_e32 v5, v2, v5, vcc
	v_cmp_gt_i32_e32 vcc, 31, v18
	v_lshl_or_b32 v3, v3, 9, v2
	v_cndmask_b32_e32 v17, v2, v17, vcc
	v_cmp_eq_u32_e32 vcc, s14, v16
	v_lshrrev_b32_e32 v6, 16, v6
	v_lshl_or_b32 v7, v7, 9, v2
	v_cndmask_b32_e32 v3, v5, v3, vcc
	v_cmp_eq_u32_e32 vcc, s14, v18
	v_lshrrev_b32_e32 v8, 16, v8
	v_cndmask_b32_e32 v5, v17, v7, vcc
	v_and_or_b32 v3, v6, s15, v3
	v_and_or_b32 v5, v8, s15, v5
	v_and_b32_e32 v3, 0xffff, v3
	v_add_u32_e32 v20, 0xfffffc10, v20
	v_lshl_or_b32 v3, v5, 16, v3
	v_or_b32_e32 v19, v30, v19
	global_store_dword v[0:1], v3, off
	v_lshl_or_b32 v3, v20, 12, v9
	v_cmp_gt_i32_e32 vcc, 1, v20
	v_cndmask_b32_e32 v3, v3, v19, vcc
	v_and_b32_e32 v5, 7, v3
	v_cmp_lt_i32_e32 vcc, 5, v5
	v_cmp_eq_u32_e64 s[0:1], 3, v5
	v_lshrrev_b32_e32 v5, 2, v3
	v_cvt_f64_f32_e32 v[3:4], v4
	s_or_b64 vcc, s[0:1], vcc
	v_addc_co_u32_e32 v5, vcc, 0, v5, vcc
	v_mul_f64 v[3:4], v[3:4], s[12:13]
	v_cmp_gt_i32_e32 vcc, 31, v20
	v_cndmask_b32_e32 v5, v2, v5, vcc
	v_cmp_ne_u32_e32 vcc, 0, v9
	v_cndmask_b32_e64 v6, 0, 1, vcc
	v_lshl_or_b32 v6, v6, 9, v2
	v_cmp_eq_u32_e32 vcc, s14, v20
	v_cndmask_b32_e32 v5, v5, v6, vcc
	v_and_or_b32 v3, v4, s10, v3
	v_lshrrev_b32_e32 v6, 16, v10
	v_cmp_ne_u32_e32 vcc, 0, v3
	v_and_or_b32 v9, v6, s15, v5
	v_cndmask_b32_e64 v3, 0, 1, vcc
	v_lshrrev_b32_e32 v5, 8, v4
	v_bfe_u32 v6, v4, 20, 11
	v_and_or_b32 v3, v5, s11, v3
	v_sub_u32_e32 v7, 0x3f1, v6
	v_or_b32_e32 v5, 0x1000, v3
	v_med3_i32 v7, v7, 0, 13
	v_lshrrev_b32_e32 v8, v7, v5
	v_lshlrev_b32_e32 v7, v7, v8
	v_cmp_ne_u32_e32 vcc, v7, v5
	v_cndmask_b32_e64 v5, 0, 1, vcc
	v_add_u32_e32 v7, 0xfffffc10, v6
	v_or_b32_e32 v5, v8, v5
	v_lshl_or_b32 v6, v7, 12, v3
	v_cmp_gt_i32_e32 vcc, 1, v7
	v_cndmask_b32_e32 v5, v6, v5, vcc
	v_and_b32_e32 v6, 7, v5
	v_cmp_lt_i32_e32 vcc, 5, v6
	v_cmp_eq_u32_e64 s[0:1], 3, v6
	v_lshrrev_b32_e32 v5, 2, v5
	s_or_b64 vcc, s[0:1], vcc
	v_addc_co_u32_e32 v8, vcc, 0, v5, vcc
	v_add_u32_e32 v5, 0x600, v40
	ds_read2_b32 v[5:6], v5 offset0:45 offset1:214
	v_cmp_gt_i32_e32 vcc, 31, v7
	v_cndmask_b32_e32 v8, v2, v8, vcc
	v_cmp_ne_u32_e32 vcc, 0, v3
	v_cndmask_b32_e64 v3, 0, 1, vcc
	s_waitcnt lgkmcnt(0)
	v_lshrrev_b32_e32 v10, 16, v5
	s_waitcnt vmcnt(3)
	v_mul_f16_sdwa v11, v10, v12 dst_sel:DWORD dst_unused:UNUSED_PAD src0_sel:DWORD src1_sel:WORD_1
	v_fma_f16 v11, v5, v12, v11
	v_cvt_f32_f16_e32 v11, v11
	v_lshl_or_b32 v3, v3, 9, v2
	v_cmp_eq_u32_e32 vcc, s14, v7
	v_cndmask_b32_e32 v3, v8, v3, vcc
	v_cvt_f64_f32_e32 v[7:8], v11
	v_lshrrev_b32_e32 v4, 16, v4
	v_and_or_b32 v11, v4, s15, v3
	v_and_b32_e32 v9, 0xffff, v9
	v_mul_f64 v[3:4], v[7:8], s[12:13]
	v_lshl_or_b32 v7, v11, 16, v9
	v_mov_b32_e32 v9, s7
	v_add_co_u32_e32 v0, vcc, s6, v0
	v_addc_co_u32_e32 v1, vcc, v1, v9, vcc
	global_store_dword v[0:1], v7, off
	v_and_or_b32 v3, v4, s10, v3
	v_cmp_ne_u32_e32 vcc, 0, v3
	v_cndmask_b32_e64 v3, 0, 1, vcc
	v_lshrrev_b32_e32 v7, 8, v4
	v_bfe_u32 v8, v4, 20, 11
	v_and_or_b32 v3, v7, s11, v3
	v_sub_u32_e32 v11, 0x3f1, v8
	v_or_b32_e32 v7, 0x1000, v3
	v_med3_i32 v11, v11, 0, 13
	v_lshrrev_b32_e32 v15, v11, v7
	v_lshlrev_b32_e32 v11, v11, v15
	v_mul_f16_sdwa v5, v5, v12 dst_sel:DWORD dst_unused:UNUSED_PAD src0_sel:DWORD src1_sel:WORD_1
	v_cmp_ne_u32_e32 vcc, v11, v7
	v_fma_f16 v5, v12, v10, -v5
	v_cndmask_b32_e64 v7, 0, 1, vcc
	v_add_u32_e32 v11, 0xfffffc10, v8
	v_cvt_f32_f16_e32 v5, v5
	v_or_b32_e32 v7, v15, v7
	v_lshl_or_b32 v8, v11, 12, v3
	v_cmp_gt_i32_e32 vcc, 1, v11
	v_cndmask_b32_e32 v7, v8, v7, vcc
	v_and_b32_e32 v8, 7, v7
	v_cmp_lt_i32_e32 vcc, 5, v8
	v_cmp_eq_u32_e64 s[0:1], 3, v8
	v_lshrrev_b32_e32 v10, 2, v7
	v_cvt_f64_f32_e32 v[7:8], v5
	s_or_b64 vcc, s[0:1], vcc
	v_addc_co_u32_e32 v5, vcc, 0, v10, vcc
	v_mul_f64 v[7:8], v[7:8], s[12:13]
	v_cmp_gt_i32_e32 vcc, 31, v11
	v_cndmask_b32_e32 v5, v2, v5, vcc
	v_cmp_ne_u32_e32 vcc, 0, v3
	v_cndmask_b32_e64 v3, 0, 1, vcc
	v_lshl_or_b32 v3, v3, 9, v2
	v_cmp_eq_u32_e32 vcc, s14, v11
	v_cndmask_b32_e32 v3, v5, v3, vcc
	v_lshrrev_b32_e32 v4, 16, v4
	v_and_or_b32 v5, v4, s15, v3
	v_and_or_b32 v3, v8, s10, v7
	v_cmp_ne_u32_e32 vcc, 0, v3
	v_cndmask_b32_e64 v3, 0, 1, vcc
	v_lshrrev_b32_e32 v4, 8, v8
	v_bfe_u32 v7, v8, 20, 11
	v_and_or_b32 v3, v4, s11, v3
	v_sub_u32_e32 v10, 0x3f1, v7
	v_or_b32_e32 v4, 0x1000, v3
	v_med3_i32 v10, v10, 0, 13
	v_lshrrev_b32_e32 v11, v10, v4
	v_lshlrev_b32_e32 v10, v10, v11
	v_cmp_ne_u32_e32 vcc, v10, v4
	v_cndmask_b32_e64 v4, 0, 1, vcc
	v_add_u32_e32 v7, 0xfffffc10, v7
	v_or_b32_e32 v4, v11, v4
	v_lshl_or_b32 v10, v7, 12, v3
	v_cmp_gt_i32_e32 vcc, 1, v7
	v_cndmask_b32_e32 v4, v10, v4, vcc
	v_and_b32_e32 v10, 7, v4
	v_cmp_lt_i32_e32 vcc, 5, v10
	v_cmp_eq_u32_e64 s[0:1], 3, v10
	v_lshrrev_b32_e32 v4, 2, v4
	s_or_b64 vcc, s[0:1], vcc
	v_addc_co_u32_e32 v4, vcc, 0, v4, vcc
	v_cmp_gt_i32_e32 vcc, 31, v7
	v_lshrrev_b32_e32 v11, 16, v6
	v_cndmask_b32_e32 v10, v2, v4, vcc
	s_waitcnt vmcnt(3)
	v_mul_f16_sdwa v4, v11, v13 dst_sel:DWORD dst_unused:UNUSED_PAD src0_sel:DWORD src1_sel:WORD_1
	v_fma_f16 v4, v6, v13, v4
	v_cvt_f32_f16_e32 v4, v4
	v_cmp_ne_u32_e32 vcc, 0, v3
	v_cndmask_b32_e64 v3, 0, 1, vcc
	v_lshl_or_b32 v12, v3, 9, v2
	v_cvt_f64_f32_e32 v[3:4], v4
	v_cmp_eq_u32_e32 vcc, s14, v7
	v_cndmask_b32_e32 v7, v10, v12, vcc
	v_lshrrev_b32_e32 v8, 16, v8
	v_mul_f64 v[3:4], v[3:4], s[12:13]
	v_add_co_u32_e32 v0, vcc, s6, v0
	v_and_or_b32 v7, v8, s15, v7
	v_and_b32_e32 v5, 0xffff, v5
	v_addc_co_u32_e32 v1, vcc, v1, v9, vcc
	v_lshl_or_b32 v5, v7, 16, v5
	v_and_or_b32 v3, v4, s10, v3
	v_cmp_ne_u32_e32 vcc, 0, v3
	global_store_dword v[0:1], v5, off
	v_cndmask_b32_e64 v3, 0, 1, vcc
	v_lshrrev_b32_e32 v5, 8, v4
	v_bfe_u32 v7, v4, 20, 11
	v_and_or_b32 v3, v5, s11, v3
	v_sub_u32_e32 v8, 0x3f1, v7
	v_or_b32_e32 v5, 0x1000, v3
	v_med3_i32 v8, v8, 0, 13
	v_lshrrev_b32_e32 v10, v8, v5
	v_lshlrev_b32_e32 v8, v8, v10
	v_mul_f16_sdwa v6, v6, v13 dst_sel:DWORD dst_unused:UNUSED_PAD src0_sel:DWORD src1_sel:WORD_1
	v_cmp_ne_u32_e32 vcc, v8, v5
	v_fma_f16 v6, v13, v11, -v6
	v_cndmask_b32_e64 v5, 0, 1, vcc
	v_add_u32_e32 v7, 0xfffffc10, v7
	v_cvt_f32_f16_e32 v6, v6
	v_or_b32_e32 v5, v10, v5
	v_lshl_or_b32 v8, v7, 12, v3
	v_cmp_gt_i32_e32 vcc, 1, v7
	v_cndmask_b32_e32 v5, v8, v5, vcc
	v_and_b32_e32 v8, 7, v5
	v_cmp_lt_i32_e32 vcc, 5, v8
	v_cmp_eq_u32_e64 s[0:1], 3, v8
	v_lshrrev_b32_e32 v8, 2, v5
	v_cvt_f64_f32_e32 v[5:6], v6
	s_or_b64 vcc, s[0:1], vcc
	v_addc_co_u32_e32 v8, vcc, 0, v8, vcc
	v_mul_f64 v[5:6], v[5:6], s[12:13]
	v_cmp_gt_i32_e32 vcc, 31, v7
	v_cndmask_b32_e32 v8, v2, v8, vcc
	v_cmp_ne_u32_e32 vcc, 0, v3
	v_cndmask_b32_e64 v3, 0, 1, vcc
	v_lshl_or_b32 v3, v3, 9, v2
	v_cmp_eq_u32_e32 vcc, s14, v7
	v_cndmask_b32_e32 v3, v8, v3, vcc
	v_lshrrev_b32_e32 v4, 16, v4
	v_and_or_b32 v10, v4, s15, v3
	v_and_or_b32 v3, v6, s10, v5
	v_cmp_ne_u32_e32 vcc, 0, v3
	v_cndmask_b32_e64 v3, 0, 1, vcc
	v_lshrrev_b32_e32 v4, 8, v6
	v_and_or_b32 v5, v4, s11, v3
	v_bfe_u32 v4, v6, 20, 11
	v_sub_u32_e32 v7, 0x3f1, v4
	v_or_b32_e32 v3, 0x1000, v5
	v_med3_i32 v7, v7, 0, 13
	v_lshrrev_b32_e32 v8, v7, v3
	v_lshlrev_b32_e32 v7, v7, v8
	v_cmp_ne_u32_e32 vcc, v7, v3
	v_cndmask_b32_e64 v3, 0, 1, vcc
	v_add_u32_e32 v11, 0xfffffc10, v4
	v_or_b32_e32 v3, v8, v3
	v_lshl_or_b32 v4, v11, 12, v5
	v_cmp_gt_i32_e32 vcc, 1, v11
	v_cndmask_b32_e32 v3, v4, v3, vcc
	v_and_b32_e32 v4, 7, v3
	v_lshrrev_b32_e32 v7, 2, v3
	v_add_u32_e32 v3, 0xb00, v40
	v_cmp_lt_i32_e32 vcc, 5, v4
	v_cmp_eq_u32_e64 s[0:1], 3, v4
	ds_read2_b32 v[3:4], v3 offset0:63 offset1:232
	s_or_b64 vcc, s[0:1], vcc
	v_addc_co_u32_e32 v7, vcc, 0, v7, vcc
	v_cmp_gt_i32_e32 vcc, 31, v11
	s_waitcnt lgkmcnt(0)
	v_lshrrev_b32_e32 v13, 16, v3
	v_cndmask_b32_e32 v12, v2, v7, vcc
	s_waitcnt vmcnt(3)
	v_mul_f16_sdwa v7, v13, v14 dst_sel:DWORD dst_unused:UNUSED_PAD src0_sel:DWORD src1_sel:WORD_1
	v_fma_f16 v7, v3, v14, v7
	v_cvt_f32_f16_e32 v7, v7
	v_cmp_ne_u32_e32 vcc, 0, v5
	v_cndmask_b32_e64 v5, 0, 1, vcc
	v_lshl_or_b32 v5, v5, 9, v2
	v_cvt_f64_f32_e32 v[7:8], v7
	v_cmp_eq_u32_e32 vcc, s14, v11
	v_cndmask_b32_e32 v5, v12, v5, vcc
	v_lshrrev_b32_e32 v6, 16, v6
	v_and_or_b32 v11, v6, s15, v5
	v_mul_f64 v[5:6], v[7:8], s[12:13]
	v_add_co_u32_e32 v0, vcc, s6, v0
	v_and_b32_e32 v7, 0xffff, v10
	v_addc_co_u32_e32 v1, vcc, v1, v9, vcc
	v_lshl_or_b32 v7, v11, 16, v7
	global_store_dword v[0:1], v7, off
	v_and_or_b32 v5, v6, s10, v5
	v_cmp_ne_u32_e32 vcc, 0, v5
	v_cndmask_b32_e64 v5, 0, 1, vcc
	v_lshrrev_b32_e32 v7, 8, v6
	v_bfe_u32 v8, v6, 20, 11
	v_and_or_b32 v5, v7, s11, v5
	v_sub_u32_e32 v10, 0x3f1, v8
	v_or_b32_e32 v7, 0x1000, v5
	v_med3_i32 v10, v10, 0, 13
	v_lshrrev_b32_e32 v11, v10, v7
	v_lshlrev_b32_e32 v10, v10, v11
	v_mul_f16_sdwa v3, v3, v14 dst_sel:DWORD dst_unused:UNUSED_PAD src0_sel:DWORD src1_sel:WORD_1
	v_cmp_ne_u32_e32 vcc, v10, v7
	v_fma_f16 v3, v14, v13, -v3
	v_cndmask_b32_e64 v7, 0, 1, vcc
	v_add_u32_e32 v10, 0xfffffc10, v8
	v_cvt_f32_f16_e32 v3, v3
	v_or_b32_e32 v7, v11, v7
	v_lshl_or_b32 v8, v10, 12, v5
	v_cmp_gt_i32_e32 vcc, 1, v10
	v_cndmask_b32_e32 v7, v8, v7, vcc
	v_and_b32_e32 v8, 7, v7
	v_cmp_lt_i32_e32 vcc, 5, v8
	v_cmp_eq_u32_e64 s[0:1], 3, v8
	v_lshrrev_b32_e32 v11, 2, v7
	v_cvt_f64_f32_e32 v[7:8], v3
	s_or_b64 vcc, s[0:1], vcc
	v_addc_co_u32_e32 v3, vcc, 0, v11, vcc
	v_mul_f64 v[7:8], v[7:8], s[12:13]
	v_cmp_gt_i32_e32 vcc, 31, v10
	v_cndmask_b32_e32 v3, v2, v3, vcc
	v_cmp_ne_u32_e32 vcc, 0, v5
	v_cndmask_b32_e64 v5, 0, 1, vcc
	v_lshl_or_b32 v5, v5, 9, v2
	v_cmp_eq_u32_e32 vcc, s14, v10
	v_cndmask_b32_e32 v3, v3, v5, vcc
	v_lshrrev_b32_e32 v5, 16, v6
	v_and_or_b32 v3, v5, s15, v3
	v_and_or_b32 v5, v8, s10, v7
	v_cmp_ne_u32_e32 vcc, 0, v5
	v_cndmask_b32_e64 v5, 0, 1, vcc
	v_lshrrev_b32_e32 v6, 8, v8
	v_bfe_u32 v7, v8, 20, 11
	v_and_or_b32 v5, v6, s11, v5
	v_sub_u32_e32 v10, 0x3f1, v7
	v_or_b32_e32 v6, 0x1000, v5
	v_med3_i32 v10, v10, 0, 13
	v_lshrrev_b32_e32 v11, v10, v6
	v_lshlrev_b32_e32 v10, v10, v11
	v_cmp_ne_u32_e32 vcc, v10, v6
	v_cndmask_b32_e64 v6, 0, 1, vcc
	v_add_u32_e32 v7, 0xfffffc10, v7
	v_or_b32_e32 v6, v11, v6
	v_lshl_or_b32 v10, v7, 12, v5
	v_cmp_gt_i32_e32 vcc, 1, v7
	v_cndmask_b32_e32 v6, v10, v6, vcc
	v_and_b32_e32 v10, 7, v6
	v_cmp_lt_i32_e32 vcc, 5, v10
	v_cmp_eq_u32_e64 s[0:1], 3, v10
	v_lshrrev_b32_e32 v6, 2, v6
	s_or_b64 vcc, s[0:1], vcc
	v_addc_co_u32_e32 v6, vcc, 0, v6, vcc
	v_cmp_gt_i32_e32 vcc, 31, v7
	v_cndmask_b32_e32 v6, v2, v6, vcc
	v_cmp_ne_u32_e32 vcc, 0, v5
	v_cndmask_b32_e64 v5, 0, 1, vcc
	v_lshl_or_b32 v5, v5, 9, v2
	v_cmp_eq_u32_e32 vcc, s14, v7
	v_cndmask_b32_e32 v5, v6, v5, vcc
	v_lshrrev_b32_e32 v6, 16, v8
	v_and_or_b32 v5, v6, s15, v5
	v_and_b32_e32 v3, 0xffff, v3
	v_add_co_u32_e32 v0, vcc, s6, v0
	v_lshl_or_b32 v3, v5, 16, v3
	v_addc_co_u32_e32 v1, vcc, v1, v9, vcc
	global_store_dword v[0:1], v3, off
	global_load_dword v3, v[24:25], off offset:3744
	v_lshrrev_b32_e32 v7, 16, v4
	s_waitcnt vmcnt(0)
	v_mul_f16_sdwa v5, v7, v3 dst_sel:DWORD dst_unused:UNUSED_PAD src0_sel:DWORD src1_sel:WORD_1
	v_fma_f16 v5, v4, v3, v5
	v_cvt_f32_f16_e32 v5, v5
	v_mul_f16_sdwa v4, v4, v3 dst_sel:DWORD dst_unused:UNUSED_PAD src0_sel:DWORD src1_sel:WORD_1
	v_fma_f16 v3, v3, v7, -v4
	v_cvt_f32_f16_e32 v3, v3
	v_cvt_f64_f32_e32 v[5:6], v5
	v_cvt_f64_f32_e32 v[3:4], v3
	v_mul_f64 v[5:6], v[5:6], s[12:13]
	v_mul_f64 v[3:4], v[3:4], s[12:13]
	v_and_or_b32 v5, v6, s10, v5
	v_cmp_ne_u32_e32 vcc, 0, v5
	v_cndmask_b32_e64 v5, 0, 1, vcc
	v_lshrrev_b32_e32 v8, 8, v6
	v_bfe_u32 v10, v6, 20, 11
	v_and_or_b32 v5, v8, s11, v5
	v_sub_u32_e32 v11, 0x3f1, v10
	v_or_b32_e32 v8, 0x1000, v5
	v_med3_i32 v11, v11, 0, 13
	v_lshrrev_b32_e32 v12, v11, v8
	v_lshlrev_b32_e32 v11, v11, v12
	v_cmp_ne_u32_e32 vcc, v11, v8
	v_cndmask_b32_e64 v8, 0, 1, vcc
	v_add_u32_e32 v10, 0xfffffc10, v10
	v_or_b32_e32 v8, v12, v8
	v_lshl_or_b32 v11, v10, 12, v5
	v_cmp_gt_i32_e32 vcc, 1, v10
	v_cndmask_b32_e32 v8, v11, v8, vcc
	v_and_b32_e32 v11, 7, v8
	v_cmp_lt_i32_e32 vcc, 5, v11
	v_cmp_eq_u32_e64 s[0:1], 3, v11
	v_lshrrev_b32_e32 v7, 2, v8
	s_or_b64 vcc, s[0:1], vcc
	v_addc_co_u32_e32 v7, vcc, 0, v7, vcc
	v_cmp_gt_i32_e32 vcc, 31, v10
	v_cndmask_b32_e32 v7, v2, v7, vcc
	v_cmp_ne_u32_e32 vcc, 0, v5
	v_cndmask_b32_e64 v5, 0, 1, vcc
	v_lshl_or_b32 v5, v5, 9, v2
	v_cmp_eq_u32_e32 vcc, s14, v10
	v_and_or_b32 v3, v4, s10, v3
	v_cndmask_b32_e32 v5, v7, v5, vcc
	v_lshrrev_b32_e32 v6, 16, v6
	v_cmp_ne_u32_e32 vcc, 0, v3
	v_and_or_b32 v5, v6, s15, v5
	v_cndmask_b32_e64 v3, 0, 1, vcc
	v_lshrrev_b32_e32 v6, 8, v4
	v_bfe_u32 v7, v4, 20, 11
	v_and_or_b32 v3, v6, s11, v3
	v_sub_u32_e32 v8, 0x3f1, v7
	v_or_b32_e32 v6, 0x1000, v3
	v_med3_i32 v8, v8, 0, 13
	v_lshrrev_b32_e32 v10, v8, v6
	v_lshlrev_b32_e32 v8, v8, v10
	v_cmp_ne_u32_e32 vcc, v8, v6
	v_cndmask_b32_e64 v6, 0, 1, vcc
	v_add_u32_e32 v7, 0xfffffc10, v7
	v_or_b32_e32 v6, v10, v6
	v_lshl_or_b32 v8, v7, 12, v3
	v_cmp_gt_i32_e32 vcc, 1, v7
	v_cndmask_b32_e32 v6, v8, v6, vcc
	v_and_b32_e32 v8, 7, v6
	v_cmp_lt_i32_e32 vcc, 5, v8
	v_cmp_eq_u32_e64 s[0:1], 3, v8
	v_lshrrev_b32_e32 v6, 2, v6
	s_or_b64 vcc, s[0:1], vcc
	v_addc_co_u32_e32 v6, vcc, 0, v6, vcc
	v_cmp_gt_i32_e32 vcc, 31, v7
	v_cndmask_b32_e32 v6, v2, v6, vcc
	v_cmp_ne_u32_e32 vcc, 0, v3
	v_cndmask_b32_e64 v3, 0, 1, vcc
	v_lshl_or_b32 v3, v3, 9, v2
	v_cmp_eq_u32_e32 vcc, s14, v7
	v_cndmask_b32_e32 v3, v6, v3, vcc
	v_lshrrev_b32_e32 v4, 16, v4
	v_and_or_b32 v3, v4, s15, v3
	v_and_b32_e32 v4, 0xffff, v5
	v_add_co_u32_e32 v0, vcc, s6, v0
	v_lshl_or_b32 v3, v3, 16, v4
	v_addc_co_u32_e32 v1, vcc, v1, v9, vcc
	global_store_dword v[0:1], v3, off
	v_add_co_u32_e32 v3, vcc, s16, v24
	v_addc_co_u32_e32 v4, vcc, 0, v25, vcc
	global_load_dword v5, v[3:4], off offset:324
	ds_read_b32 v6, v40 offset:4420
	s_waitcnt lgkmcnt(0)
	v_lshrrev_b32_e32 v7, 16, v6
	s_waitcnt vmcnt(0)
	v_mul_f16_sdwa v3, v7, v5 dst_sel:DWORD dst_unused:UNUSED_PAD src0_sel:DWORD src1_sel:WORD_1
	v_fma_f16 v3, v6, v5, v3
	v_cvt_f32_f16_e32 v3, v3
	v_mul_f16_sdwa v6, v6, v5 dst_sel:DWORD dst_unused:UNUSED_PAD src0_sel:DWORD src1_sel:WORD_1
	v_fma_f16 v5, v5, v7, -v6
	v_cvt_f32_f16_e32 v5, v5
	v_cvt_f64_f32_e32 v[3:4], v3
	v_cvt_f64_f32_e32 v[5:6], v5
	v_mul_f64 v[3:4], v[3:4], s[12:13]
	v_mul_f64 v[5:6], v[5:6], s[12:13]
	v_and_or_b32 v3, v4, s10, v3
	v_cmp_ne_u32_e32 vcc, 0, v3
	v_cndmask_b32_e64 v3, 0, 1, vcc
	v_lshrrev_b32_e32 v8, 8, v4
	v_bfe_u32 v10, v4, 20, 11
	v_and_or_b32 v3, v8, s11, v3
	v_sub_u32_e32 v11, 0x3f1, v10
	v_or_b32_e32 v8, 0x1000, v3
	v_med3_i32 v11, v11, 0, 13
	v_lshrrev_b32_e32 v12, v11, v8
	v_lshlrev_b32_e32 v11, v11, v12
	v_cmp_ne_u32_e32 vcc, v11, v8
	v_cndmask_b32_e64 v8, 0, 1, vcc
	v_add_u32_e32 v10, 0xfffffc10, v10
	v_or_b32_e32 v8, v12, v8
	v_lshl_or_b32 v11, v10, 12, v3
	v_cmp_gt_i32_e32 vcc, 1, v10
	v_cndmask_b32_e32 v8, v11, v8, vcc
	v_and_b32_e32 v11, 7, v8
	v_cmp_lt_i32_e32 vcc, 5, v11
	v_cmp_eq_u32_e64 s[0:1], 3, v11
	v_lshrrev_b32_e32 v7, 2, v8
	s_or_b64 vcc, s[0:1], vcc
	v_addc_co_u32_e32 v7, vcc, 0, v7, vcc
	v_cmp_gt_i32_e32 vcc, 31, v10
	v_cndmask_b32_e32 v7, v2, v7, vcc
	v_cmp_ne_u32_e32 vcc, 0, v3
	v_cndmask_b32_e64 v3, 0, 1, vcc
	v_lshl_or_b32 v3, v3, 9, v2
	v_cmp_eq_u32_e32 vcc, s14, v10
	v_cndmask_b32_e32 v3, v7, v3, vcc
	v_lshrrev_b32_e32 v4, 16, v4
	v_and_or_b32 v3, v4, s15, v3
	v_and_or_b32 v4, v6, s10, v5
	v_cmp_ne_u32_e32 vcc, 0, v4
	v_cndmask_b32_e64 v4, 0, 1, vcc
	v_lshrrev_b32_e32 v5, 8, v6
	v_bfe_u32 v7, v6, 20, 11
	v_and_or_b32 v4, v5, s11, v4
	v_sub_u32_e32 v8, 0x3f1, v7
	v_or_b32_e32 v5, 0x1000, v4
	v_med3_i32 v8, v8, 0, 13
	v_lshrrev_b32_e32 v10, v8, v5
	v_lshlrev_b32_e32 v8, v8, v10
	v_cmp_ne_u32_e32 vcc, v8, v5
	v_cndmask_b32_e64 v5, 0, 1, vcc
	v_add_u32_e32 v7, 0xfffffc10, v7
	v_or_b32_e32 v5, v10, v5
	v_lshl_or_b32 v8, v7, 12, v4
	v_cmp_gt_i32_e32 vcc, 1, v7
	v_cndmask_b32_e32 v5, v8, v5, vcc
	v_and_b32_e32 v8, 7, v5
	v_cmp_lt_i32_e32 vcc, 5, v8
	v_cmp_eq_u32_e64 s[0:1], 3, v8
	v_lshrrev_b32_e32 v5, 2, v5
	s_or_b64 vcc, s[0:1], vcc
	v_addc_co_u32_e32 v5, vcc, 0, v5, vcc
	v_cmp_gt_i32_e32 vcc, 31, v7
	v_cndmask_b32_e32 v5, v2, v5, vcc
	v_cmp_ne_u32_e32 vcc, 0, v4
	v_cndmask_b32_e64 v4, 0, 1, vcc
	v_lshl_or_b32 v2, v4, 9, v2
	v_cmp_eq_u32_e32 vcc, s14, v7
	v_cndmask_b32_e32 v2, v5, v2, vcc
	v_lshrrev_b32_e32 v4, 16, v6
	v_and_or_b32 v2, v4, s15, v2
	v_and_b32_e32 v3, 0xffff, v3
	v_add_co_u32_e32 v0, vcc, s6, v0
	v_lshl_or_b32 v2, v2, 16, v3
	v_addc_co_u32_e32 v1, vcc, v1, v9, vcc
	global_store_dword v[0:1], v2, off
.LBB0_15:
	s_endpgm
	.section	.rodata,"a",@progbits
	.p2align	6, 0x0
	.amdhsa_kernel bluestein_single_fwd_len1183_dim1_half_op_CI_CI
		.amdhsa_group_segment_fixed_size 9464
		.amdhsa_private_segment_fixed_size 0
		.amdhsa_kernarg_size 104
		.amdhsa_user_sgpr_count 6
		.amdhsa_user_sgpr_private_segment_buffer 1
		.amdhsa_user_sgpr_dispatch_ptr 0
		.amdhsa_user_sgpr_queue_ptr 0
		.amdhsa_user_sgpr_kernarg_segment_ptr 1
		.amdhsa_user_sgpr_dispatch_id 0
		.amdhsa_user_sgpr_flat_scratch_init 0
		.amdhsa_user_sgpr_private_segment_size 0
		.amdhsa_uses_dynamic_stack 0
		.amdhsa_system_sgpr_private_segment_wavefront_offset 0
		.amdhsa_system_sgpr_workgroup_id_x 1
		.amdhsa_system_sgpr_workgroup_id_y 0
		.amdhsa_system_sgpr_workgroup_id_z 0
		.amdhsa_system_sgpr_workgroup_info 0
		.amdhsa_system_vgpr_workitem_id 0
		.amdhsa_next_free_vgpr 113
		.amdhsa_next_free_sgpr 26
		.amdhsa_reserve_vcc 1
		.amdhsa_reserve_flat_scratch 0
		.amdhsa_float_round_mode_32 0
		.amdhsa_float_round_mode_16_64 0
		.amdhsa_float_denorm_mode_32 3
		.amdhsa_float_denorm_mode_16_64 3
		.amdhsa_dx10_clamp 1
		.amdhsa_ieee_mode 1
		.amdhsa_fp16_overflow 0
		.amdhsa_exception_fp_ieee_invalid_op 0
		.amdhsa_exception_fp_denorm_src 0
		.amdhsa_exception_fp_ieee_div_zero 0
		.amdhsa_exception_fp_ieee_overflow 0
		.amdhsa_exception_fp_ieee_underflow 0
		.amdhsa_exception_fp_ieee_inexact 0
		.amdhsa_exception_int_div_zero 0
	.end_amdhsa_kernel
	.text
.Lfunc_end0:
	.size	bluestein_single_fwd_len1183_dim1_half_op_CI_CI, .Lfunc_end0-bluestein_single_fwd_len1183_dim1_half_op_CI_CI
                                        ; -- End function
	.section	.AMDGPU.csdata,"",@progbits
; Kernel info:
; codeLenInByte = 25412
; NumSgprs: 30
; NumVgprs: 113
; ScratchSize: 0
; MemoryBound: 0
; FloatMode: 240
; IeeeMode: 1
; LDSByteSize: 9464 bytes/workgroup (compile time only)
; SGPRBlocks: 3
; VGPRBlocks: 28
; NumSGPRsForWavesPerEU: 30
; NumVGPRsForWavesPerEU: 113
; Occupancy: 2
; WaveLimiterHint : 1
; COMPUTE_PGM_RSRC2:SCRATCH_EN: 0
; COMPUTE_PGM_RSRC2:USER_SGPR: 6
; COMPUTE_PGM_RSRC2:TRAP_HANDLER: 0
; COMPUTE_PGM_RSRC2:TGID_X_EN: 1
; COMPUTE_PGM_RSRC2:TGID_Y_EN: 0
; COMPUTE_PGM_RSRC2:TGID_Z_EN: 0
; COMPUTE_PGM_RSRC2:TIDIG_COMP_CNT: 0
	.type	__hip_cuid_d13191c401917586,@object ; @__hip_cuid_d13191c401917586
	.section	.bss,"aw",@nobits
	.globl	__hip_cuid_d13191c401917586
__hip_cuid_d13191c401917586:
	.byte	0                               ; 0x0
	.size	__hip_cuid_d13191c401917586, 1

	.ident	"AMD clang version 19.0.0git (https://github.com/RadeonOpenCompute/llvm-project roc-6.4.0 25133 c7fe45cf4b819c5991fe208aaa96edf142730f1d)"
	.section	".note.GNU-stack","",@progbits
	.addrsig
	.addrsig_sym __hip_cuid_d13191c401917586
	.amdgpu_metadata
---
amdhsa.kernels:
  - .args:
      - .actual_access:  read_only
        .address_space:  global
        .offset:         0
        .size:           8
        .value_kind:     global_buffer
      - .actual_access:  read_only
        .address_space:  global
        .offset:         8
        .size:           8
        .value_kind:     global_buffer
      - .actual_access:  read_only
        .address_space:  global
        .offset:         16
        .size:           8
        .value_kind:     global_buffer
      - .actual_access:  read_only
        .address_space:  global
        .offset:         24
        .size:           8
        .value_kind:     global_buffer
      - .actual_access:  read_only
        .address_space:  global
        .offset:         32
        .size:           8
        .value_kind:     global_buffer
      - .offset:         40
        .size:           8
        .value_kind:     by_value
      - .address_space:  global
        .offset:         48
        .size:           8
        .value_kind:     global_buffer
      - .address_space:  global
        .offset:         56
        .size:           8
        .value_kind:     global_buffer
      - .address_space:  global
        .offset:         64
        .size:           8
        .value_kind:     global_buffer
      - .address_space:  global
        .offset:         72
        .size:           8
        .value_kind:     global_buffer
      - .offset:         80
        .size:           4
        .value_kind:     by_value
      - .address_space:  global
        .offset:         88
        .size:           8
        .value_kind:     global_buffer
      - .address_space:  global
        .offset:         96
        .size:           8
        .value_kind:     global_buffer
    .group_segment_fixed_size: 9464
    .kernarg_segment_align: 8
    .kernarg_segment_size: 104
    .language:       OpenCL C
    .language_version:
      - 2
      - 0
    .max_flat_workgroup_size: 182
    .name:           bluestein_single_fwd_len1183_dim1_half_op_CI_CI
    .private_segment_fixed_size: 0
    .sgpr_count:     30
    .sgpr_spill_count: 0
    .symbol:         bluestein_single_fwd_len1183_dim1_half_op_CI_CI.kd
    .uniform_work_group_size: 1
    .uses_dynamic_stack: false
    .vgpr_count:     113
    .vgpr_spill_count: 0
    .wavefront_size: 64
amdhsa.target:   amdgcn-amd-amdhsa--gfx906
amdhsa.version:
  - 1
  - 2
...

	.end_amdgpu_metadata
